;; amdgpu-corpus repo=ROCm/vllm kind=compiled arch=gfx1100 opt=O3
	.text
	.amdgcn_target "amdgcn-amd-amdhsa--gfx1100"
	.amdhsa_code_object_version 6
	.section	.text._ZN4vllm32rms_norm_static_fp8_quant_kernelIfN3c1013Float8_e4m3fnEEEvPT0_PKT_iS7_PKffii,"axG",@progbits,_ZN4vllm32rms_norm_static_fp8_quant_kernelIfN3c1013Float8_e4m3fnEEEvPT0_PKT_iS7_PKffii,comdat
	.protected	_ZN4vllm32rms_norm_static_fp8_quant_kernelIfN3c1013Float8_e4m3fnEEEvPT0_PKT_iS7_PKffii ; -- Begin function _ZN4vllm32rms_norm_static_fp8_quant_kernelIfN3c1013Float8_e4m3fnEEEvPT0_PKT_iS7_PKffii
	.globl	_ZN4vllm32rms_norm_static_fp8_quant_kernelIfN3c1013Float8_e4m3fnEEEvPT0_PKT_iS7_PKffii
	.p2align	8
	.type	_ZN4vllm32rms_norm_static_fp8_quant_kernelIfN3c1013Float8_e4m3fnEEEvPT0_PKT_iS7_PKffii,@function
_ZN4vllm32rms_norm_static_fp8_quant_kernelIfN3c1013Float8_e4m3fnEEEvPT0_PKT_iS7_PKffii: ; @_ZN4vllm32rms_norm_static_fp8_quant_kernelIfN3c1013Float8_e4m3fnEEEvPT0_PKT_iS7_PKffii
; %bb.0:
	s_clause 0x2
	s_load_b32 s3, s[0:1], 0x30
	s_load_b64 s[8:9], s[0:1], 0x8
	s_load_b32 s12, s[0:1], 0x10
	s_mov_b32 s4, exec_lo
                                        ; implicit-def: $sgpr16
                                        ; implicit-def: $sgpr14
	s_waitcnt lgkmcnt(0)
	v_cmp_gt_i32_e64 s2, s3, v0
	v_cmpx_le_i32_e64 s3, v0
	s_xor_b32 s4, exec_lo, s4
	s_cbranch_execz .LBB0_2
; %bb.1:
	s_load_b32 s5, s[0:1], 0x44
	s_mov_b32 s16, 0
	s_waitcnt lgkmcnt(0)
	s_and_b32 s14, s5, 0xffff
.LBB0_2:
	s_or_saveexec_b32 s13, s4
	s_clause 0x1
	s_load_b64 s[10:11], s[0:1], 0x0
	s_load_b128 s[4:7], s[0:1], 0x18
	v_dual_mov_b32 v6, s16 :: v_dual_mov_b32 v5, s14
	s_mul_i32 s12, s15, s12
	s_xor_b32 exec_lo, exec_lo, s13
	s_cbranch_execz .LBB0_6
; %bb.3:
	s_load_b32 s14, s[0:1], 0x44
	v_dual_mov_b32 v2, 0 :: v_dual_mov_b32 v3, v0
	v_mov_b32_e32 v6, 0
	s_mov_b32 s16, 0
	s_waitcnt lgkmcnt(0)
	s_and_b32 s14, s14, 0xffff
.LBB0_4:                                ; =>This Inner Loop Header: Depth=1
	v_add_nc_u32_e32 v1, s12, v3
	s_delay_alu instid0(VALU_DEP_1) | instskip(NEXT) | instid1(VALU_DEP_1)
	v_lshlrev_b64 v[4:5], 2, v[1:2]
	v_add_co_u32 v4, vcc_lo, s8, v4
	s_delay_alu instid0(VALU_DEP_2) | instskip(SKIP_3) | instid1(VALU_DEP_1)
	v_add_co_ci_u32_e32 v5, vcc_lo, s9, v5, vcc_lo
	global_load_b32 v1, v[4:5], off
	s_waitcnt vmcnt(0)
	v_dual_fmac_f32 v6, v1, v1 :: v_dual_add_nc_u32 v3, s14, v3
	v_cmp_le_i32_e32 vcc_lo, s3, v3
	s_or_b32 s16, vcc_lo, s16
	s_delay_alu instid0(SALU_CYCLE_1)
	s_and_not1_b32 exec_lo, exec_lo, s16
	s_cbranch_execnz .LBB0_4
; %bb.5:
	s_or_b32 exec_lo, exec_lo, s16
	v_mov_b32_e32 v5, s14
.LBB0_6:
	s_or_b32 exec_lo, exec_lo, s13
	v_mbcnt_lo_u32_b32 v1, -1, 0
	v_and_b32_e32 v3, 0x3e0, v0
	s_mov_b32 s13, exec_lo
	s_delay_alu instid0(VALU_DEP_2) | instskip(NEXT) | instid1(VALU_DEP_2)
	v_cmp_ne_u32_e32 vcc_lo, 31, v1
	v_sub_nc_u32_e64 v13, v5, v3 clamp
	v_add_co_ci_u32_e32 v2, vcc_lo, 0, v1, vcc_lo
	v_cmp_gt_u32_e32 vcc_lo, 30, v1
	s_delay_alu instid0(VALU_DEP_2)
	v_lshlrev_b32_e32 v2, 2, v2
	v_cndmask_b32_e64 v7, 0, 1, vcc_lo
	ds_bpermute_b32 v4, v2, v6
	s_waitcnt lgkmcnt(0)
	v_dual_add_f32 v8, v6, v4 :: v_dual_lshlrev_b32 v7, 1, v7
	v_add_nc_u32_e32 v3, 1, v1
	s_delay_alu instid0(VALU_DEP_2) | instskip(NEXT) | instid1(VALU_DEP_2)
	v_add_lshl_u32 v4, v7, v1, 2
	v_cmp_lt_u32_e32 vcc_lo, v3, v13
	s_delay_alu instid0(VALU_DEP_4) | instskip(SKIP_3) | instid1(VALU_DEP_1)
	v_cndmask_b32_e32 v8, v6, v8, vcc_lo
	v_cmp_gt_u32_e32 vcc_lo, 28, v1
	ds_bpermute_b32 v7, v4, v8
	v_cndmask_b32_e64 v6, 0, 1, vcc_lo
	v_lshlrev_b32_e32 v9, 2, v6
	v_add_nc_u32_e32 v6, 2, v1
	s_delay_alu instid0(VALU_DEP_1) | instskip(SKIP_3) | instid1(VALU_DEP_2)
	v_cmp_lt_u32_e32 vcc_lo, v6, v13
	s_waitcnt lgkmcnt(0)
	v_add_f32_e32 v10, v8, v7
	v_add_lshl_u32 v7, v9, v1, 2
	v_cndmask_b32_e32 v10, v8, v10, vcc_lo
	v_cmp_gt_u32_e32 vcc_lo, 24, v1
	v_cndmask_b32_e64 v8, 0, 1, vcc_lo
	s_delay_alu instid0(VALU_DEP_1) | instskip(SKIP_2) | instid1(VALU_DEP_1)
	v_lshlrev_b32_e32 v11, 3, v8
	ds_bpermute_b32 v9, v7, v10
	v_add_nc_u32_e32 v8, 4, v1
	v_cmp_lt_u32_e32 vcc_lo, v8, v13
	s_waitcnt lgkmcnt(0)
	v_add_f32_e32 v12, v10, v9
	v_add_lshl_u32 v9, v11, v1, 2
	s_delay_alu instid0(VALU_DEP_2) | instskip(SKIP_3) | instid1(VALU_DEP_1)
	v_cndmask_b32_e32 v12, v10, v12, vcc_lo
	v_cmp_gt_u32_e32 vcc_lo, 16, v1
	ds_bpermute_b32 v11, v9, v12
	v_cndmask_b32_e64 v10, 0, 1, vcc_lo
	v_lshlrev_b32_e32 v14, 4, v10
	v_add_nc_u32_e32 v10, 8, v1
	s_delay_alu instid0(VALU_DEP_1) | instskip(SKIP_3) | instid1(VALU_DEP_2)
	v_cmp_lt_u32_e32 vcc_lo, v10, v13
	s_waitcnt lgkmcnt(0)
	v_add_f32_e32 v15, v12, v11
	v_add_lshl_u32 v11, v14, v1, 2
	v_cndmask_b32_e32 v14, v12, v15, vcc_lo
	v_add_nc_u32_e32 v12, 16, v1
	ds_bpermute_b32 v15, v11, v14
	v_cmp_lt_u32_e32 vcc_lo, v12, v13
	s_waitcnt lgkmcnt(0)
	v_add_f32_e32 v15, v14, v15
	s_delay_alu instid0(VALU_DEP_1)
	v_cndmask_b32_e32 v13, v14, v15, vcc_lo
	v_cmpx_eq_u32_e32 0, v1
	s_cbranch_execz .LBB0_8
; %bb.7:
	v_lshrrev_b32_e32 v14, 3, v0
	s_delay_alu instid0(VALU_DEP_1)
	v_and_b32_e32 v14, 0x7c, v14
	ds_store_b32 v14, v13
.LBB0_8:
	s_or_b32 exec_lo, exec_lo, s13
	s_delay_alu instid0(SALU_CYCLE_1)
	s_mov_b32 s13, exec_lo
	s_waitcnt lgkmcnt(0)
	s_barrier
	buffer_gl0_inv
	v_cmpx_gt_u32_e32 32, v0
	s_cbranch_execz .LBB0_10
; %bb.9:
	v_lshlrev_b32_e32 v1, 2, v1
	ds_load_b32 v1, v1
	s_waitcnt lgkmcnt(0)
	ds_bpermute_b32 v2, v2, v1
	s_waitcnt lgkmcnt(0)
	v_dual_add_f32 v2, v1, v2 :: v_dual_add_nc_u32 v13, 31, v5
	s_delay_alu instid0(VALU_DEP_1) | instskip(NEXT) | instid1(VALU_DEP_1)
	v_lshrrev_b32_e32 v13, 5, v13
	v_cmp_lt_u32_e32 vcc_lo, v3, v13
	s_delay_alu instid0(VALU_DEP_3) | instskip(SKIP_4) | instid1(VALU_DEP_1)
	v_cndmask_b32_e32 v1, v1, v2, vcc_lo
	v_cmp_lt_u32_e32 vcc_lo, v6, v13
	ds_bpermute_b32 v2, v4, v1
	s_waitcnt lgkmcnt(0)
	v_add_f32_e32 v2, v1, v2
	v_cndmask_b32_e32 v1, v1, v2, vcc_lo
	v_cmp_lt_u32_e32 vcc_lo, v8, v13
	ds_bpermute_b32 v2, v7, v1
	s_waitcnt lgkmcnt(0)
	v_add_f32_e32 v2, v1, v2
	s_delay_alu instid0(VALU_DEP_1) | instskip(SKIP_4) | instid1(VALU_DEP_1)
	v_cndmask_b32_e32 v1, v1, v2, vcc_lo
	v_cmp_lt_u32_e32 vcc_lo, v10, v13
	ds_bpermute_b32 v2, v9, v1
	s_waitcnt lgkmcnt(0)
	v_add_f32_e32 v2, v1, v2
	v_cndmask_b32_e32 v1, v1, v2, vcc_lo
	v_cmp_lt_u32_e32 vcc_lo, v12, v13
	ds_bpermute_b32 v2, v11, v1
	s_waitcnt lgkmcnt(0)
	v_add_f32_e32 v2, v1, v2
	s_delay_alu instid0(VALU_DEP_1)
	v_cndmask_b32_e32 v13, v1, v2, vcc_lo
.LBB0_10:
	s_or_b32 exec_lo, exec_lo, s13
	s_delay_alu instid0(SALU_CYCLE_1)
	s_mov_b32 s13, exec_lo
	v_cmpx_eq_u32_e32 0, v0
	s_cbranch_execz .LBB0_12
; %bb.11:
	v_cvt_f32_i32_e32 v1, s3
	s_load_b32 s0, s[0:1], 0x28
	s_delay_alu instid0(VALU_DEP_1) | instskip(SKIP_1) | instid1(VALU_DEP_2)
	v_div_scale_f32 v2, null, v1, v1, v13
	v_div_scale_f32 v6, vcc_lo, v13, v1, v13
	v_rcp_f32_e32 v3, v2
	s_waitcnt_depctr 0xfff
	v_fma_f32 v4, -v2, v3, 1.0
	s_delay_alu instid0(VALU_DEP_1) | instskip(NEXT) | instid1(VALU_DEP_1)
	v_fmac_f32_e32 v3, v4, v3
	v_mul_f32_e32 v4, v6, v3
	s_delay_alu instid0(VALU_DEP_1) | instskip(NEXT) | instid1(VALU_DEP_1)
	v_fma_f32 v7, -v2, v4, v6
	v_fmac_f32_e32 v4, v7, v3
	s_delay_alu instid0(VALU_DEP_1) | instskip(NEXT) | instid1(VALU_DEP_1)
	v_fma_f32 v2, -v2, v4, v6
	v_div_fmas_f32 v2, v2, v3, v4
	s_delay_alu instid0(VALU_DEP_1) | instskip(SKIP_1) | instid1(VALU_DEP_1)
	v_div_fixup_f32 v1, v2, v1, v13
	s_waitcnt lgkmcnt(0)
	v_add_f32_e32 v1, s0, v1
	s_delay_alu instid0(VALU_DEP_1) | instskip(SKIP_1) | instid1(VALU_DEP_2)
	v_mul_f32_e32 v2, 0x4b800000, v1
	v_cmp_gt_f32_e32 vcc_lo, 0x800000, v1
	v_cndmask_b32_e32 v1, v1, v2, vcc_lo
	s_delay_alu instid0(VALU_DEP_1) | instskip(SKIP_2) | instid1(VALU_DEP_1)
	v_rsq_f32_e32 v1, v1
	s_waitcnt_depctr 0xfff
	v_mul_f32_e32 v2, 0x45800000, v1
	v_dual_cndmask_b32 v1, v1, v2 :: v_dual_mov_b32 v2, 0
	ds_store_b32 v2, v1 offset:128
.LBB0_12:
	s_or_b32 exec_lo, exec_lo, s13
	s_waitcnt lgkmcnt(0)
	s_barrier
	buffer_gl0_inv
	s_and_saveexec_b32 s0, s2
	s_cbranch_execz .LBB0_31
; %bb.13:
	s_load_b32 s0, s[6:7], 0x0
	s_mul_i32 s15, s15, s3
	s_mov_b32 s2, 0
	s_mov_b32 s6, 0x43e00000
	s_waitcnt lgkmcnt(0)
	v_div_scale_f32 v1, null, s0, s0, 1.0
	v_div_scale_f32 v4, vcc_lo, 1.0, s0, 1.0
	s_delay_alu instid0(VALU_DEP_2) | instskip(SKIP_2) | instid1(VALU_DEP_1)
	v_rcp_f32_e32 v3, v1
	s_waitcnt_depctr 0xfff
	v_fma_f32 v2, -v1, v3, 1.0
	v_dual_fmac_f32 v3, v2, v3 :: v_dual_mov_b32 v2, 0
	s_delay_alu instid0(VALU_DEP_1) | instskip(NEXT) | instid1(VALU_DEP_1)
	v_mul_f32_e32 v7, v4, v3
	v_fma_f32 v6, -v1, v7, v4
	s_delay_alu instid0(VALU_DEP_1) | instskip(SKIP_2) | instid1(VALU_DEP_1)
	v_fmac_f32_e32 v7, v6, v3
	ds_load_b32 v6, v2 offset:128
	v_fma_f32 v1, -v1, v7, v4
	v_div_fmas_f32 v1, v1, v3, v7
	s_delay_alu instid0(VALU_DEP_1)
	v_div_fixup_f32 v7, v1, s0, 1.0
	s_branch .LBB0_15
.LBB0_14:                               ;   in Loop: Header=BB0_15 Depth=1
	s_or_b32 exec_lo, exec_lo, s0
	v_add_nc_u32_e32 v1, s15, v0
	v_add_nc_u32_e32 v0, v0, v5
	global_store_b8 v1, v4, s[10:11]
	v_cmp_le_i32_e32 vcc_lo, s3, v0
	s_or_b32 s2, vcc_lo, s2
	s_delay_alu instid0(SALU_CYCLE_1)
	s_and_not1_b32 exec_lo, exec_lo, s2
	s_cbranch_execz .LBB0_31
.LBB0_15:                               ; =>This Inner Loop Header: Depth=1
	v_add_nc_u32_e32 v1, s12, v0
	v_mov_b32_e32 v11, v2
	s_mov_b32 s0, exec_lo
	s_delay_alu instid0(VALU_DEP_2) | instskip(SKIP_1) | instid1(VALU_DEP_1)
	v_lshlrev_b64 v[3:4], 2, v[1:2]
	v_ashrrev_i32_e32 v1, 31, v0
	v_lshlrev_b64 v[8:9], 2, v[0:1]
	s_delay_alu instid0(VALU_DEP_3) | instskip(NEXT) | instid1(VALU_DEP_4)
	v_add_co_u32 v3, vcc_lo, s8, v3
	v_add_co_ci_u32_e32 v4, vcc_lo, s9, v4, vcc_lo
	global_load_b32 v1, v[3:4], off
	v_add_co_u32 v3, vcc_lo, s4, v8
	v_add_co_ci_u32_e32 v4, vcc_lo, s5, v9, vcc_lo
	global_load_b32 v3, v[3:4], off
	s_waitcnt vmcnt(1) lgkmcnt(0)
	v_mul_f32_e32 v1, v1, v6
	s_waitcnt vmcnt(0)
	s_delay_alu instid0(VALU_DEP_1) | instskip(NEXT) | instid1(VALU_DEP_1)
	v_mul_f32_e32 v1, v1, v3
	v_mul_f32_e32 v1, v7, v1
	s_delay_alu instid0(VALU_DEP_1) | instskip(NEXT) | instid1(VALU_DEP_1)
	v_minmax_f32 v3, v1, s6, 0xc3e00000
	v_lshrrev_b32_e32 v9, 24, v3
	v_and_b32_e32 v10, 0x7f800000, v3
	v_and_b32_e32 v1, 0x7fffff, v3
	s_delay_alu instid0(VALU_DEP_3) | instskip(NEXT) | instid1(VALU_DEP_1)
	v_and_b32_e32 v8, 0x80, v9
	v_or_b32_e32 v4, 0x7e, v8
	s_delay_alu instid0(VALU_DEP_4)
	v_cmpx_ne_u64_e32 0x7f800000, v[10:11]
	s_xor_b32 s7, exec_lo, s0
	s_cbranch_execz .LBB0_29
; %bb.16:                               ;   in Loop: Header=BB0_15 Depth=1
	v_dual_mov_b32 v10, v2 :: v_dual_and_b32 v9, 0x7fffffff, v3
	s_mov_b32 s0, exec_lo
	s_delay_alu instid0(VALU_DEP_1)
	v_cmpx_gt_u64_e32 0x43e00001, v[9:10]
	s_xor_b32 s13, exec_lo, s0
	s_cbranch_execz .LBB0_28
; %bb.17:                               ;   in Loop: Header=BB0_15 Depth=1
	v_mov_b32_e32 v4, 0
	s_mov_b32 s14, exec_lo
	v_cmpx_ne_u32_e32 0, v3
	s_cbranch_execz .LBB0_27
; %bb.18:                               ;   in Loop: Header=BB0_15 Depth=1
	v_bfe_u32 v13, v3, 23, 8
	s_delay_alu instid0(VALU_DEP_1) | instskip(SKIP_2) | instid1(VALU_DEP_3)
	v_sub_nc_u32_e64 v3, 0x79, v13 clamp
	v_cmp_eq_u32_e32 vcc_lo, 0, v13
	v_add_nc_u32_e32 v13, 0xffffff88, v13
	v_cndmask_b32_e64 v14, v3, 0x78, vcc_lo
	v_or_b32_e32 v3, 0x800000, v1
	s_delay_alu instid0(VALU_DEP_1) | instskip(SKIP_1) | instid1(VALU_DEP_2)
	v_dual_cndmask_b32 v1, v3, v1 :: v_dual_add_nc_u32 v4, 20, v14
	v_add_nc_u32_e32 v9, 19, v14
	v_lshlrev_b64 v[3:4], v4, -1
	s_delay_alu instid0(VALU_DEP_3) | instskip(NEXT) | instid1(VALU_DEP_2)
	v_lshrrev_b64 v[11:12], v14, v[1:2]
	v_not_b32_e32 v10, v4
	s_delay_alu instid0(VALU_DEP_3) | instskip(SKIP_1) | instid1(VALU_DEP_3)
	v_not_b32_e32 v15, v3
	v_lshlrev_b64 v[3:4], v9, 1
	v_and_b32_e32 v10, 0, v10
	s_delay_alu instid0(VALU_DEP_3) | instskip(SKIP_1) | instid1(VALU_DEP_2)
	v_and_b32_e32 v9, v1, v15
	v_and_b32_e32 v1, 0x100000, v11
	v_cmp_eq_u64_e64 s0, v[9:10], v[3:4]
	s_delay_alu instid0(VALU_DEP_2) | instskip(SKIP_2) | instid1(VALU_DEP_3)
	v_cmp_eq_u64_e64 s1, 0, v[1:2]
	v_cndmask_b32_e64 v1, v13, 0xffffff89, vcc_lo
	v_lshrrev_b32_e32 v3, 23, v11
	s_and_b32 vcc_lo, s1, s0
	s_delay_alu instid0(VALU_DEP_1) | instskip(SKIP_2) | instid1(VALU_DEP_2)
	v_add3_u32 v9, v1, v14, v3
	v_subrev_co_ci_u32_e32 v4, vcc_lo, 0, v11, vcc_lo
	s_mov_b32 s0, exec_lo
	v_add_nc_u32_e32 v10, -1, v9
	s_delay_alu instid0(VALU_DEP_2) | instskip(NEXT) | instid1(VALU_DEP_1)
	v_and_b32_e32 v1, 0xfffff, v4
	v_add_co_u32 v3, vcc_lo, v1, v11
	v_add_co_ci_u32_e32 v4, vcc_lo, 0, v12, vcc_lo
                                        ; implicit-def: $vgpr1
	s_delay_alu instid0(VALU_DEP_4)
	v_cmpx_ne_u32_e32 0, v10
	s_xor_b32 s0, exec_lo, s0
; %bb.19:                               ;   in Loop: Header=BB0_15 Depth=1
	s_delay_alu instid0(VALU_DEP_3) | instskip(SKIP_1) | instid1(VALU_DEP_2)
	v_and_b32_e32 v1, 0x1000000, v3
	v_bfe_u32 v11, v3, 24, 1
	v_cmp_eq_u64_e32 vcc_lo, 0, v[1:2]
	s_delay_alu instid0(VALU_DEP_2)
	v_lshrrev_b64 v[3:4], v11, v[3:4]
	v_cndmask_b32_e32 v1, v9, v10, vcc_lo
; %bb.20:                               ;   in Loop: Header=BB0_15 Depth=1
	s_and_not1_saveexec_b32 s0, s0
; %bb.21:                               ;   in Loop: Header=BB0_15 Depth=1
	s_delay_alu instid0(VALU_DEP_2)
	v_bfe_u32 v1, v3, 23, 1
; %bb.22:                               ;   in Loop: Header=BB0_15 Depth=1
	s_or_b32 exec_lo, exec_lo, s0
	s_delay_alu instid0(VALU_DEP_3) | instskip(NEXT) | instid1(VALU_DEP_2)
	v_lshrrev_b64 v[3:4], 20, v[3:4]
	v_cmp_gt_i32_e32 vcc_lo, 16, v1
	v_cmp_ne_u32_e64 s0, 0, v1
	s_delay_alu instid0(VALU_DEP_3) | instskip(NEXT) | instid1(VALU_DEP_1)
	v_dual_cndmask_b32 v4, 0, v4 :: v_dual_cndmask_b32 v3, 7, v3
	v_cmp_ne_u64_e32 vcc_lo, 0, v[3:4]
                                        ; implicit-def: $vgpr4
	s_delay_alu instid0(VALU_DEP_3) | instskip(NEXT) | instid1(SALU_CYCLE_1)
	s_or_b32 s0, s0, vcc_lo
	s_and_saveexec_b32 s1, s0
	s_delay_alu instid0(SALU_CYCLE_1)
	s_xor_b32 s0, exec_lo, s1
; %bb.23:                               ;   in Loop: Header=BB0_15 Depth=1
	v_min_i32_e32 v1, 15, v1
	s_delay_alu instid0(VALU_DEP_1) | instskip(NEXT) | instid1(VALU_DEP_1)
	v_lshl_or_b32 v1, v1, 3, v8
                                        ; implicit-def: $vgpr8
	v_and_or_b32 v4, v3, 7, v1
; %bb.24:                               ;   in Loop: Header=BB0_15 Depth=1
	s_and_not1_saveexec_b32 s0, s0
; %bb.25:                               ;   in Loop: Header=BB0_15 Depth=1
	v_mov_b32_e32 v4, v8
; %bb.26:                               ;   in Loop: Header=BB0_15 Depth=1
	s_or_b32 exec_lo, exec_lo, s0
.LBB0_27:                               ;   in Loop: Header=BB0_15 Depth=1
	s_delay_alu instid0(SALU_CYCLE_1)
	s_or_b32 exec_lo, exec_lo, s14
.LBB0_28:                               ;   in Loop: Header=BB0_15 Depth=1
	s_and_not1_saveexec_b32 s0, s13
	s_delay_alu instid0(SALU_CYCLE_1)
	s_or_b32 exec_lo, exec_lo, s0
                                        ; implicit-def: $vgpr9
.LBB0_29:                               ;   in Loop: Header=BB0_15 Depth=1
	s_and_not1_saveexec_b32 s0, s7
	s_cbranch_execz .LBB0_14
; %bb.30:                               ;   in Loop: Header=BB0_15 Depth=1
	v_cmp_eq_u64_e32 vcc_lo, 0, v[1:2]
	v_or_b32_e32 v3, 0x7f, v9
	s_delay_alu instid0(VALU_DEP_1)
	v_cndmask_b32_e32 v4, v3, v4, vcc_lo
	s_branch .LBB0_14
.LBB0_31:
	s_nop 0
	s_sendmsg sendmsg(MSG_DEALLOC_VGPRS)
	s_endpgm
	.section	.rodata,"a",@progbits
	.p2align	6, 0x0
	.amdhsa_kernel _ZN4vllm32rms_norm_static_fp8_quant_kernelIfN3c1013Float8_e4m3fnEEEvPT0_PKT_iS7_PKffii
		.amdhsa_group_segment_fixed_size 132
		.amdhsa_private_segment_fixed_size 0
		.amdhsa_kernarg_size 312
		.amdhsa_user_sgpr_count 15
		.amdhsa_user_sgpr_dispatch_ptr 0
		.amdhsa_user_sgpr_queue_ptr 0
		.amdhsa_user_sgpr_kernarg_segment_ptr 1
		.amdhsa_user_sgpr_dispatch_id 0
		.amdhsa_user_sgpr_private_segment_size 0
		.amdhsa_wavefront_size32 1
		.amdhsa_uses_dynamic_stack 0
		.amdhsa_enable_private_segment 0
		.amdhsa_system_sgpr_workgroup_id_x 1
		.amdhsa_system_sgpr_workgroup_id_y 0
		.amdhsa_system_sgpr_workgroup_id_z 0
		.amdhsa_system_sgpr_workgroup_info 0
		.amdhsa_system_vgpr_workitem_id 0
		.amdhsa_next_free_vgpr 16
		.amdhsa_next_free_sgpr 17
		.amdhsa_reserve_vcc 1
		.amdhsa_float_round_mode_32 0
		.amdhsa_float_round_mode_16_64 0
		.amdhsa_float_denorm_mode_32 3
		.amdhsa_float_denorm_mode_16_64 3
		.amdhsa_dx10_clamp 1
		.amdhsa_ieee_mode 1
		.amdhsa_fp16_overflow 0
		.amdhsa_workgroup_processor_mode 1
		.amdhsa_memory_ordered 1
		.amdhsa_forward_progress 0
		.amdhsa_shared_vgpr_count 0
		.amdhsa_exception_fp_ieee_invalid_op 0
		.amdhsa_exception_fp_denorm_src 0
		.amdhsa_exception_fp_ieee_div_zero 0
		.amdhsa_exception_fp_ieee_overflow 0
		.amdhsa_exception_fp_ieee_underflow 0
		.amdhsa_exception_fp_ieee_inexact 0
		.amdhsa_exception_int_div_zero 0
	.end_amdhsa_kernel
	.section	.text._ZN4vllm32rms_norm_static_fp8_quant_kernelIfN3c1013Float8_e4m3fnEEEvPT0_PKT_iS7_PKffii,"axG",@progbits,_ZN4vllm32rms_norm_static_fp8_quant_kernelIfN3c1013Float8_e4m3fnEEEvPT0_PKT_iS7_PKffii,comdat
.Lfunc_end0:
	.size	_ZN4vllm32rms_norm_static_fp8_quant_kernelIfN3c1013Float8_e4m3fnEEEvPT0_PKT_iS7_PKffii, .Lfunc_end0-_ZN4vllm32rms_norm_static_fp8_quant_kernelIfN3c1013Float8_e4m3fnEEEvPT0_PKT_iS7_PKffii
                                        ; -- End function
	.section	.AMDGPU.csdata,"",@progbits
; Kernel info:
; codeLenInByte = 1872
; NumSgprs: 19
; NumVgprs: 16
; ScratchSize: 0
; MemoryBound: 0
; FloatMode: 240
; IeeeMode: 1
; LDSByteSize: 132 bytes/workgroup (compile time only)
; SGPRBlocks: 2
; VGPRBlocks: 1
; NumSGPRsForWavesPerEU: 19
; NumVGPRsForWavesPerEU: 16
; Occupancy: 16
; WaveLimiterHint : 0
; COMPUTE_PGM_RSRC2:SCRATCH_EN: 0
; COMPUTE_PGM_RSRC2:USER_SGPR: 15
; COMPUTE_PGM_RSRC2:TRAP_HANDLER: 0
; COMPUTE_PGM_RSRC2:TGID_X_EN: 1
; COMPUTE_PGM_RSRC2:TGID_Y_EN: 0
; COMPUTE_PGM_RSRC2:TGID_Z_EN: 0
; COMPUTE_PGM_RSRC2:TIDIG_COMP_CNT: 0
	.section	.text._ZN4vllm32rms_norm_static_fp8_quant_kernelIfN3c1015Float8_e4m3fnuzEEEvPT0_PKT_iS7_PKffii,"axG",@progbits,_ZN4vllm32rms_norm_static_fp8_quant_kernelIfN3c1015Float8_e4m3fnuzEEEvPT0_PKT_iS7_PKffii,comdat
	.protected	_ZN4vllm32rms_norm_static_fp8_quant_kernelIfN3c1015Float8_e4m3fnuzEEEvPT0_PKT_iS7_PKffii ; -- Begin function _ZN4vllm32rms_norm_static_fp8_quant_kernelIfN3c1015Float8_e4m3fnuzEEEvPT0_PKT_iS7_PKffii
	.globl	_ZN4vllm32rms_norm_static_fp8_quant_kernelIfN3c1015Float8_e4m3fnuzEEEvPT0_PKT_iS7_PKffii
	.p2align	8
	.type	_ZN4vllm32rms_norm_static_fp8_quant_kernelIfN3c1015Float8_e4m3fnuzEEEvPT0_PKT_iS7_PKffii,@function
_ZN4vllm32rms_norm_static_fp8_quant_kernelIfN3c1015Float8_e4m3fnuzEEEvPT0_PKT_iS7_PKffii: ; @_ZN4vllm32rms_norm_static_fp8_quant_kernelIfN3c1015Float8_e4m3fnuzEEEvPT0_PKT_iS7_PKffii
; %bb.0:
	s_clause 0x2
	s_load_b32 s3, s[0:1], 0x30
	s_load_b64 s[8:9], s[0:1], 0x8
	s_load_b32 s12, s[0:1], 0x10
	s_mov_b32 s4, exec_lo
                                        ; implicit-def: $sgpr16
                                        ; implicit-def: $sgpr14
	s_waitcnt lgkmcnt(0)
	v_cmp_gt_i32_e64 s2, s3, v0
	v_cmpx_le_i32_e64 s3, v0
	s_xor_b32 s4, exec_lo, s4
	s_cbranch_execz .LBB1_2
; %bb.1:
	s_load_b32 s5, s[0:1], 0x44
	s_mov_b32 s16, 0
	s_waitcnt lgkmcnt(0)
	s_and_b32 s14, s5, 0xffff
.LBB1_2:
	s_or_saveexec_b32 s13, s4
	s_clause 0x1
	s_load_b64 s[10:11], s[0:1], 0x0
	s_load_b128 s[4:7], s[0:1], 0x18
	v_dual_mov_b32 v6, s16 :: v_dual_mov_b32 v5, s14
	s_mul_i32 s12, s15, s12
	s_xor_b32 exec_lo, exec_lo, s13
	s_cbranch_execz .LBB1_6
; %bb.3:
	s_load_b32 s14, s[0:1], 0x44
	v_dual_mov_b32 v2, 0 :: v_dual_mov_b32 v3, v0
	v_mov_b32_e32 v6, 0
	s_mov_b32 s16, 0
	s_waitcnt lgkmcnt(0)
	s_and_b32 s14, s14, 0xffff
.LBB1_4:                                ; =>This Inner Loop Header: Depth=1
	v_add_nc_u32_e32 v1, s12, v3
	s_delay_alu instid0(VALU_DEP_1) | instskip(NEXT) | instid1(VALU_DEP_1)
	v_lshlrev_b64 v[4:5], 2, v[1:2]
	v_add_co_u32 v4, vcc_lo, s8, v4
	s_delay_alu instid0(VALU_DEP_2) | instskip(SKIP_3) | instid1(VALU_DEP_1)
	v_add_co_ci_u32_e32 v5, vcc_lo, s9, v5, vcc_lo
	global_load_b32 v1, v[4:5], off
	s_waitcnt vmcnt(0)
	v_dual_fmac_f32 v6, v1, v1 :: v_dual_add_nc_u32 v3, s14, v3
	v_cmp_le_i32_e32 vcc_lo, s3, v3
	s_or_b32 s16, vcc_lo, s16
	s_delay_alu instid0(SALU_CYCLE_1)
	s_and_not1_b32 exec_lo, exec_lo, s16
	s_cbranch_execnz .LBB1_4
; %bb.5:
	s_or_b32 exec_lo, exec_lo, s16
	v_mov_b32_e32 v5, s14
.LBB1_6:
	s_or_b32 exec_lo, exec_lo, s13
	v_mbcnt_lo_u32_b32 v1, -1, 0
	v_and_b32_e32 v3, 0x3e0, v0
	s_mov_b32 s13, exec_lo
	s_delay_alu instid0(VALU_DEP_2) | instskip(NEXT) | instid1(VALU_DEP_2)
	v_cmp_ne_u32_e32 vcc_lo, 31, v1
	v_sub_nc_u32_e64 v13, v5, v3 clamp
	v_add_co_ci_u32_e32 v2, vcc_lo, 0, v1, vcc_lo
	v_cmp_gt_u32_e32 vcc_lo, 30, v1
	s_delay_alu instid0(VALU_DEP_2)
	v_lshlrev_b32_e32 v2, 2, v2
	v_cndmask_b32_e64 v7, 0, 1, vcc_lo
	ds_bpermute_b32 v4, v2, v6
	s_waitcnt lgkmcnt(0)
	v_dual_add_f32 v8, v6, v4 :: v_dual_lshlrev_b32 v7, 1, v7
	v_add_nc_u32_e32 v3, 1, v1
	s_delay_alu instid0(VALU_DEP_2) | instskip(NEXT) | instid1(VALU_DEP_2)
	v_add_lshl_u32 v4, v7, v1, 2
	v_cmp_lt_u32_e32 vcc_lo, v3, v13
	s_delay_alu instid0(VALU_DEP_4) | instskip(SKIP_3) | instid1(VALU_DEP_1)
	v_cndmask_b32_e32 v8, v6, v8, vcc_lo
	v_cmp_gt_u32_e32 vcc_lo, 28, v1
	ds_bpermute_b32 v7, v4, v8
	v_cndmask_b32_e64 v6, 0, 1, vcc_lo
	v_lshlrev_b32_e32 v9, 2, v6
	v_add_nc_u32_e32 v6, 2, v1
	s_delay_alu instid0(VALU_DEP_1) | instskip(SKIP_3) | instid1(VALU_DEP_2)
	v_cmp_lt_u32_e32 vcc_lo, v6, v13
	s_waitcnt lgkmcnt(0)
	v_add_f32_e32 v10, v8, v7
	v_add_lshl_u32 v7, v9, v1, 2
	v_cndmask_b32_e32 v10, v8, v10, vcc_lo
	v_cmp_gt_u32_e32 vcc_lo, 24, v1
	v_cndmask_b32_e64 v8, 0, 1, vcc_lo
	s_delay_alu instid0(VALU_DEP_1) | instskip(SKIP_2) | instid1(VALU_DEP_1)
	v_lshlrev_b32_e32 v11, 3, v8
	ds_bpermute_b32 v9, v7, v10
	v_add_nc_u32_e32 v8, 4, v1
	v_cmp_lt_u32_e32 vcc_lo, v8, v13
	s_waitcnt lgkmcnt(0)
	v_add_f32_e32 v12, v10, v9
	v_add_lshl_u32 v9, v11, v1, 2
	s_delay_alu instid0(VALU_DEP_2) | instskip(SKIP_3) | instid1(VALU_DEP_1)
	v_cndmask_b32_e32 v12, v10, v12, vcc_lo
	v_cmp_gt_u32_e32 vcc_lo, 16, v1
	ds_bpermute_b32 v11, v9, v12
	v_cndmask_b32_e64 v10, 0, 1, vcc_lo
	v_lshlrev_b32_e32 v14, 4, v10
	v_add_nc_u32_e32 v10, 8, v1
	s_delay_alu instid0(VALU_DEP_1) | instskip(SKIP_3) | instid1(VALU_DEP_2)
	v_cmp_lt_u32_e32 vcc_lo, v10, v13
	s_waitcnt lgkmcnt(0)
	v_add_f32_e32 v15, v12, v11
	v_add_lshl_u32 v11, v14, v1, 2
	v_cndmask_b32_e32 v14, v12, v15, vcc_lo
	v_add_nc_u32_e32 v12, 16, v1
	ds_bpermute_b32 v15, v11, v14
	v_cmp_lt_u32_e32 vcc_lo, v12, v13
	s_waitcnt lgkmcnt(0)
	v_add_f32_e32 v15, v14, v15
	s_delay_alu instid0(VALU_DEP_1)
	v_cndmask_b32_e32 v13, v14, v15, vcc_lo
	v_cmpx_eq_u32_e32 0, v1
	s_cbranch_execz .LBB1_8
; %bb.7:
	v_lshrrev_b32_e32 v14, 3, v0
	s_delay_alu instid0(VALU_DEP_1)
	v_and_b32_e32 v14, 0x7c, v14
	ds_store_b32 v14, v13
.LBB1_8:
	s_or_b32 exec_lo, exec_lo, s13
	s_delay_alu instid0(SALU_CYCLE_1)
	s_mov_b32 s13, exec_lo
	s_waitcnt lgkmcnt(0)
	s_barrier
	buffer_gl0_inv
	v_cmpx_gt_u32_e32 32, v0
	s_cbranch_execz .LBB1_10
; %bb.9:
	v_lshlrev_b32_e32 v1, 2, v1
	ds_load_b32 v1, v1
	s_waitcnt lgkmcnt(0)
	ds_bpermute_b32 v2, v2, v1
	s_waitcnt lgkmcnt(0)
	v_dual_add_f32 v2, v1, v2 :: v_dual_add_nc_u32 v13, 31, v5
	s_delay_alu instid0(VALU_DEP_1) | instskip(NEXT) | instid1(VALU_DEP_1)
	v_lshrrev_b32_e32 v13, 5, v13
	v_cmp_lt_u32_e32 vcc_lo, v3, v13
	s_delay_alu instid0(VALU_DEP_3) | instskip(SKIP_4) | instid1(VALU_DEP_1)
	v_cndmask_b32_e32 v1, v1, v2, vcc_lo
	v_cmp_lt_u32_e32 vcc_lo, v6, v13
	ds_bpermute_b32 v2, v4, v1
	s_waitcnt lgkmcnt(0)
	v_add_f32_e32 v2, v1, v2
	v_cndmask_b32_e32 v1, v1, v2, vcc_lo
	v_cmp_lt_u32_e32 vcc_lo, v8, v13
	ds_bpermute_b32 v2, v7, v1
	s_waitcnt lgkmcnt(0)
	v_add_f32_e32 v2, v1, v2
	s_delay_alu instid0(VALU_DEP_1) | instskip(SKIP_4) | instid1(VALU_DEP_1)
	v_cndmask_b32_e32 v1, v1, v2, vcc_lo
	v_cmp_lt_u32_e32 vcc_lo, v10, v13
	ds_bpermute_b32 v2, v9, v1
	s_waitcnt lgkmcnt(0)
	v_add_f32_e32 v2, v1, v2
	v_cndmask_b32_e32 v1, v1, v2, vcc_lo
	v_cmp_lt_u32_e32 vcc_lo, v12, v13
	ds_bpermute_b32 v2, v11, v1
	s_waitcnt lgkmcnt(0)
	v_add_f32_e32 v2, v1, v2
	s_delay_alu instid0(VALU_DEP_1)
	v_cndmask_b32_e32 v13, v1, v2, vcc_lo
.LBB1_10:
	s_or_b32 exec_lo, exec_lo, s13
	s_delay_alu instid0(SALU_CYCLE_1)
	s_mov_b32 s13, exec_lo
	v_cmpx_eq_u32_e32 0, v0
	s_cbranch_execz .LBB1_12
; %bb.11:
	v_cvt_f32_i32_e32 v1, s3
	s_load_b32 s0, s[0:1], 0x28
	s_delay_alu instid0(VALU_DEP_1) | instskip(SKIP_1) | instid1(VALU_DEP_2)
	v_div_scale_f32 v2, null, v1, v1, v13
	v_div_scale_f32 v6, vcc_lo, v13, v1, v13
	v_rcp_f32_e32 v3, v2
	s_waitcnt_depctr 0xfff
	v_fma_f32 v4, -v2, v3, 1.0
	s_delay_alu instid0(VALU_DEP_1) | instskip(NEXT) | instid1(VALU_DEP_1)
	v_fmac_f32_e32 v3, v4, v3
	v_mul_f32_e32 v4, v6, v3
	s_delay_alu instid0(VALU_DEP_1) | instskip(NEXT) | instid1(VALU_DEP_1)
	v_fma_f32 v7, -v2, v4, v6
	v_fmac_f32_e32 v4, v7, v3
	s_delay_alu instid0(VALU_DEP_1) | instskip(NEXT) | instid1(VALU_DEP_1)
	v_fma_f32 v2, -v2, v4, v6
	v_div_fmas_f32 v2, v2, v3, v4
	s_delay_alu instid0(VALU_DEP_1) | instskip(SKIP_1) | instid1(VALU_DEP_1)
	v_div_fixup_f32 v1, v2, v1, v13
	s_waitcnt lgkmcnt(0)
	v_add_f32_e32 v1, s0, v1
	s_delay_alu instid0(VALU_DEP_1) | instskip(SKIP_1) | instid1(VALU_DEP_2)
	v_mul_f32_e32 v2, 0x4b800000, v1
	v_cmp_gt_f32_e32 vcc_lo, 0x800000, v1
	v_cndmask_b32_e32 v1, v1, v2, vcc_lo
	s_delay_alu instid0(VALU_DEP_1) | instskip(SKIP_2) | instid1(VALU_DEP_1)
	v_rsq_f32_e32 v1, v1
	s_waitcnt_depctr 0xfff
	v_mul_f32_e32 v2, 0x45800000, v1
	v_dual_cndmask_b32 v1, v1, v2 :: v_dual_mov_b32 v2, 0
	ds_store_b32 v2, v1 offset:128
.LBB1_12:
	s_or_b32 exec_lo, exec_lo, s13
	s_waitcnt lgkmcnt(0)
	s_barrier
	buffer_gl0_inv
	s_and_saveexec_b32 s0, s2
	s_cbranch_execz .LBB1_25
; %bb.13:
	s_load_b32 s0, s[6:7], 0x0
	s_mul_i32 s15, s15, s3
	s_mov_b32 s2, 0
	s_mov_b32 s6, 0x43600000
	s_waitcnt lgkmcnt(0)
	v_div_scale_f32 v1, null, s0, s0, 1.0
	v_div_scale_f32 v4, vcc_lo, 1.0, s0, 1.0
	s_delay_alu instid0(VALU_DEP_2) | instskip(SKIP_2) | instid1(VALU_DEP_1)
	v_rcp_f32_e32 v3, v1
	s_waitcnt_depctr 0xfff
	v_fma_f32 v2, -v1, v3, 1.0
	v_dual_fmac_f32 v3, v2, v3 :: v_dual_mov_b32 v2, 0
	s_delay_alu instid0(VALU_DEP_1) | instskip(NEXT) | instid1(VALU_DEP_1)
	v_mul_f32_e32 v7, v4, v3
	v_fma_f32 v6, -v1, v7, v4
	s_delay_alu instid0(VALU_DEP_1) | instskip(SKIP_2) | instid1(VALU_DEP_1)
	v_fmac_f32_e32 v7, v6, v3
	ds_load_b32 v6, v2 offset:128
	v_fma_f32 v1, -v1, v7, v4
	v_div_fmas_f32 v1, v1, v3, v7
	s_delay_alu instid0(VALU_DEP_1)
	v_div_fixup_f32 v7, v1, s0, 1.0
	s_branch .LBB1_18
.LBB1_14:                               ;   in Loop: Header=BB1_18 Depth=1
	s_or_b32 exec_lo, exec_lo, s0
	s_delay_alu instid0(VALU_DEP_2) | instskip(NEXT) | instid1(VALU_DEP_2)
	v_lshrrev_b64 v[3:4], 20, v[3:4]
	v_cmp_gt_i32_e32 vcc_lo, 16, v1
	v_and_b32_e32 v8, 0x80, v8
	v_min_i32_e32 v9, 15, v1
	v_cmp_eq_u32_e64 s0, 0, v1
	v_dual_cndmask_b32 v3, 7, v3 :: v_dual_cndmask_b32 v4, 0, v4
	s_delay_alu instid0(VALU_DEP_3) | instskip(NEXT) | instid1(VALU_DEP_2)
	v_lshl_or_b32 v8, v9, 3, v8
	v_cmp_eq_u64_e32 vcc_lo, 0, v[3:4]
	s_delay_alu instid0(VALU_DEP_2)
	v_and_or_b32 v1, v3, 7, v8
	s_and_b32 s0, s0, vcc_lo
	s_delay_alu instid0(VALU_DEP_1) | instid1(SALU_CYCLE_1)
	v_cndmask_b32_e64 v3, v1, 0, s0
.LBB1_15:                               ;   in Loop: Header=BB1_18 Depth=1
	s_or_b32 exec_lo, exec_lo, s14
.LBB1_16:                               ;   in Loop: Header=BB1_18 Depth=1
	s_and_not1_saveexec_b32 s0, s13
	s_delay_alu instid0(SALU_CYCLE_1)
	s_or_b32 exec_lo, exec_lo, s0
.LBB1_17:                               ;   in Loop: Header=BB1_18 Depth=1
	s_and_not1_saveexec_b32 s0, s7
	s_delay_alu instid0(SALU_CYCLE_1)
	s_or_b32 exec_lo, exec_lo, s0
	v_add_nc_u32_e32 v1, s15, v0
	v_add_nc_u32_e32 v0, v0, v5
	global_store_b8 v1, v3, s[10:11]
	v_cmp_le_i32_e32 vcc_lo, s3, v0
	s_or_b32 s2, vcc_lo, s2
	s_delay_alu instid0(SALU_CYCLE_1)
	s_and_not1_b32 exec_lo, exec_lo, s2
	s_cbranch_execz .LBB1_25
.LBB1_18:                               ; =>This Inner Loop Header: Depth=1
	v_add_nc_u32_e32 v1, s12, v0
	s_mov_b32 s0, exec_lo
	s_delay_alu instid0(VALU_DEP_1) | instskip(SKIP_1) | instid1(VALU_DEP_1)
	v_lshlrev_b64 v[3:4], 2, v[1:2]
	v_ashrrev_i32_e32 v1, 31, v0
	v_lshlrev_b64 v[8:9], 2, v[0:1]
	s_delay_alu instid0(VALU_DEP_3) | instskip(NEXT) | instid1(VALU_DEP_4)
	v_add_co_u32 v3, vcc_lo, s8, v3
	v_add_co_ci_u32_e32 v4, vcc_lo, s9, v4, vcc_lo
	global_load_b32 v1, v[3:4], off
	v_add_co_u32 v3, vcc_lo, s4, v8
	v_add_co_ci_u32_e32 v4, vcc_lo, s5, v9, vcc_lo
	global_load_b32 v3, v[3:4], off
	s_waitcnt vmcnt(1) lgkmcnt(0)
	v_mul_f32_e32 v1, v1, v6
	s_waitcnt vmcnt(0)
	s_delay_alu instid0(VALU_DEP_1) | instskip(NEXT) | instid1(VALU_DEP_1)
	v_mul_f32_e32 v1, v1, v3
	v_mul_f32_e32 v1, v7, v1
	s_delay_alu instid0(VALU_DEP_1) | instskip(NEXT) | instid1(VALU_DEP_1)
	v_minmax_f32 v4, v1, s6, 0xc3600000
	v_lshrrev_b32_e32 v8, 24, v4
	v_and_b32_e32 v1, 0x7f800000, v4
	s_delay_alu instid0(VALU_DEP_2) | instskip(NEXT) | instid1(VALU_DEP_2)
	v_or_b32_e32 v3, 0x7f, v8
	v_cmpx_ne_u64_e32 0x7f800000, v[1:2]
	s_xor_b32 s7, exec_lo, s0
	s_cbranch_execz .LBB1_17
; %bb.19:                               ;   in Loop: Header=BB1_18 Depth=1
	v_and_b32_e32 v1, 0x7fffffff, v4
	s_mov_b32 s0, exec_lo
	s_delay_alu instid0(VALU_DEP_1)
	v_cmpx_gt_u64_e32 0x43700001, v[1:2]
	s_xor_b32 s13, exec_lo, s0
	s_cbranch_execz .LBB1_16
; %bb.20:                               ;   in Loop: Header=BB1_18 Depth=1
	v_mov_b32_e32 v3, 0
	s_mov_b32 s14, exec_lo
	v_cmpx_ne_u32_e32 0, v4
	s_cbranch_execz .LBB1_15
; %bb.21:                               ;   in Loop: Header=BB1_18 Depth=1
	v_bfe_u32 v13, v4, 23, 8
	v_and_b32_e32 v3, 0x7fffff, v4
	s_delay_alu instid0(VALU_DEP_2) | instskip(SKIP_2) | instid1(VALU_DEP_3)
	v_sub_nc_u32_e64 v1, 0x78, v13 clamp
	v_cmp_eq_u32_e32 vcc_lo, 0, v13
	v_add_nc_u32_e32 v13, 0xffffff89, v13
	v_cndmask_b32_e64 v14, v1, 0x77, vcc_lo
	v_or_b32_e32 v1, 0x800000, v3
	s_delay_alu instid0(VALU_DEP_1) | instskip(SKIP_1) | instid1(VALU_DEP_2)
	v_dual_cndmask_b32 v1, v1, v3 :: v_dual_add_nc_u32 v4, 20, v14
	v_add_nc_u32_e32 v9, 19, v14
	v_lshlrev_b64 v[3:4], v4, -1
	s_delay_alu instid0(VALU_DEP_3) | instskip(NEXT) | instid1(VALU_DEP_3)
	v_lshrrev_b64 v[11:12], v14, v[1:2]
	v_lshlrev_b64 v[9:10], v9, 1
	v_mov_b32_e32 v4, v2
	s_delay_alu instid0(VALU_DEP_4) | instskip(NEXT) | instid1(VALU_DEP_1)
	v_not_b32_e32 v3, v3
	v_and_b32_e32 v3, v1, v3
	v_and_b32_e32 v1, 0x100000, v11
	s_delay_alu instid0(VALU_DEP_2) | instskip(NEXT) | instid1(VALU_DEP_2)
	v_cmp_eq_u64_e64 s0, v[3:4], v[9:10]
	v_cmp_eq_u64_e64 s1, 0, v[1:2]
	v_cndmask_b32_e64 v1, v13, 0xffffff8a, vcc_lo
	v_lshrrev_b32_e32 v3, 23, v11
	s_delay_alu instid0(VALU_DEP_3) | instskip(NEXT) | instid1(VALU_DEP_1)
	s_and_b32 vcc_lo, s1, s0
	v_add3_u32 v9, v1, v14, v3
	v_subrev_co_ci_u32_e32 v4, vcc_lo, 0, v11, vcc_lo
	s_mov_b32 s0, exec_lo
	s_delay_alu instid0(VALU_DEP_2) | instskip(NEXT) | instid1(VALU_DEP_2)
	v_add_nc_u32_e32 v10, -1, v9
	v_and_b32_e32 v1, 0xfffff, v4
	s_delay_alu instid0(VALU_DEP_1) | instskip(SKIP_1) | instid1(VALU_DEP_4)
	v_add_co_u32 v3, vcc_lo, v1, v11
	v_add_co_ci_u32_e32 v4, vcc_lo, 0, v12, vcc_lo
                                        ; implicit-def: $vgpr1
	v_cmpx_ne_u32_e32 0, v10
	s_xor_b32 s0, exec_lo, s0
; %bb.22:                               ;   in Loop: Header=BB1_18 Depth=1
	s_delay_alu instid0(VALU_DEP_3) | instskip(SKIP_1) | instid1(VALU_DEP_2)
	v_and_b32_e32 v1, 0x1000000, v3
	v_bfe_u32 v11, v3, 24, 1
	v_cmp_eq_u64_e32 vcc_lo, 0, v[1:2]
	s_delay_alu instid0(VALU_DEP_2)
	v_lshrrev_b64 v[3:4], v11, v[3:4]
	v_cndmask_b32_e32 v1, v9, v10, vcc_lo
; %bb.23:                               ;   in Loop: Header=BB1_18 Depth=1
	s_and_not1_saveexec_b32 s0, s0
	s_cbranch_execz .LBB1_14
; %bb.24:                               ;   in Loop: Header=BB1_18 Depth=1
	s_delay_alu instid0(VALU_DEP_2)
	v_bfe_u32 v1, v3, 23, 1
	s_branch .LBB1_14
.LBB1_25:
	s_nop 0
	s_sendmsg sendmsg(MSG_DEALLOC_VGPRS)
	s_endpgm
	.section	.rodata,"a",@progbits
	.p2align	6, 0x0
	.amdhsa_kernel _ZN4vllm32rms_norm_static_fp8_quant_kernelIfN3c1015Float8_e4m3fnuzEEEvPT0_PKT_iS7_PKffii
		.amdhsa_group_segment_fixed_size 132
		.amdhsa_private_segment_fixed_size 0
		.amdhsa_kernarg_size 312
		.amdhsa_user_sgpr_count 15
		.amdhsa_user_sgpr_dispatch_ptr 0
		.amdhsa_user_sgpr_queue_ptr 0
		.amdhsa_user_sgpr_kernarg_segment_ptr 1
		.amdhsa_user_sgpr_dispatch_id 0
		.amdhsa_user_sgpr_private_segment_size 0
		.amdhsa_wavefront_size32 1
		.amdhsa_uses_dynamic_stack 0
		.amdhsa_enable_private_segment 0
		.amdhsa_system_sgpr_workgroup_id_x 1
		.amdhsa_system_sgpr_workgroup_id_y 0
		.amdhsa_system_sgpr_workgroup_id_z 0
		.amdhsa_system_sgpr_workgroup_info 0
		.amdhsa_system_vgpr_workitem_id 0
		.amdhsa_next_free_vgpr 16
		.amdhsa_next_free_sgpr 17
		.amdhsa_reserve_vcc 1
		.amdhsa_float_round_mode_32 0
		.amdhsa_float_round_mode_16_64 0
		.amdhsa_float_denorm_mode_32 3
		.amdhsa_float_denorm_mode_16_64 3
		.amdhsa_dx10_clamp 1
		.amdhsa_ieee_mode 1
		.amdhsa_fp16_overflow 0
		.amdhsa_workgroup_processor_mode 1
		.amdhsa_memory_ordered 1
		.amdhsa_forward_progress 0
		.amdhsa_shared_vgpr_count 0
		.amdhsa_exception_fp_ieee_invalid_op 0
		.amdhsa_exception_fp_denorm_src 0
		.amdhsa_exception_fp_ieee_div_zero 0
		.amdhsa_exception_fp_ieee_overflow 0
		.amdhsa_exception_fp_ieee_underflow 0
		.amdhsa_exception_fp_ieee_inexact 0
		.amdhsa_exception_int_div_zero 0
	.end_amdhsa_kernel
	.section	.text._ZN4vllm32rms_norm_static_fp8_quant_kernelIfN3c1015Float8_e4m3fnuzEEEvPT0_PKT_iS7_PKffii,"axG",@progbits,_ZN4vllm32rms_norm_static_fp8_quant_kernelIfN3c1015Float8_e4m3fnuzEEEvPT0_PKT_iS7_PKffii,comdat
.Lfunc_end1:
	.size	_ZN4vllm32rms_norm_static_fp8_quant_kernelIfN3c1015Float8_e4m3fnuzEEEvPT0_PKT_iS7_PKffii, .Lfunc_end1-_ZN4vllm32rms_norm_static_fp8_quant_kernelIfN3c1015Float8_e4m3fnuzEEEvPT0_PKT_iS7_PKffii
                                        ; -- End function
	.section	.AMDGPU.csdata,"",@progbits
; Kernel info:
; codeLenInByte = 1816
; NumSgprs: 19
; NumVgprs: 16
; ScratchSize: 0
; MemoryBound: 0
; FloatMode: 240
; IeeeMode: 1
; LDSByteSize: 132 bytes/workgroup (compile time only)
; SGPRBlocks: 2
; VGPRBlocks: 1
; NumSGPRsForWavesPerEU: 19
; NumVGPRsForWavesPerEU: 16
; Occupancy: 16
; WaveLimiterHint : 0
; COMPUTE_PGM_RSRC2:SCRATCH_EN: 0
; COMPUTE_PGM_RSRC2:USER_SGPR: 15
; COMPUTE_PGM_RSRC2:TRAP_HANDLER: 0
; COMPUTE_PGM_RSRC2:TGID_X_EN: 1
; COMPUTE_PGM_RSRC2:TGID_Y_EN: 0
; COMPUTE_PGM_RSRC2:TGID_Z_EN: 0
; COMPUTE_PGM_RSRC2:TIDIG_COMP_CNT: 0
	.section	.text._ZN4vllm32rms_norm_static_fp8_quant_kernelIN3c104HalfENS1_13Float8_e4m3fnEEEvPT0_PKT_iS8_PKffii,"axG",@progbits,_ZN4vllm32rms_norm_static_fp8_quant_kernelIN3c104HalfENS1_13Float8_e4m3fnEEEvPT0_PKT_iS8_PKffii,comdat
	.protected	_ZN4vllm32rms_norm_static_fp8_quant_kernelIN3c104HalfENS1_13Float8_e4m3fnEEEvPT0_PKT_iS8_PKffii ; -- Begin function _ZN4vllm32rms_norm_static_fp8_quant_kernelIN3c104HalfENS1_13Float8_e4m3fnEEEvPT0_PKT_iS8_PKffii
	.globl	_ZN4vllm32rms_norm_static_fp8_quant_kernelIN3c104HalfENS1_13Float8_e4m3fnEEEvPT0_PKT_iS8_PKffii
	.p2align	8
	.type	_ZN4vllm32rms_norm_static_fp8_quant_kernelIN3c104HalfENS1_13Float8_e4m3fnEEEvPT0_PKT_iS8_PKffii,@function
_ZN4vllm32rms_norm_static_fp8_quant_kernelIN3c104HalfENS1_13Float8_e4m3fnEEEvPT0_PKT_iS8_PKffii: ; @_ZN4vllm32rms_norm_static_fp8_quant_kernelIN3c104HalfENS1_13Float8_e4m3fnEEEvPT0_PKT_iS8_PKffii
; %bb.0:
	s_clause 0x2
	s_load_b32 s3, s[0:1], 0x30
	s_load_b64 s[8:9], s[0:1], 0x8
	s_load_b32 s12, s[0:1], 0x10
	s_mov_b32 s4, exec_lo
                                        ; implicit-def: $sgpr16
                                        ; implicit-def: $sgpr14
	s_waitcnt lgkmcnt(0)
	v_cmp_gt_i32_e64 s2, s3, v0
	v_cmpx_le_i32_e64 s3, v0
	s_xor_b32 s4, exec_lo, s4
	s_cbranch_execz .LBB2_2
; %bb.1:
	s_load_b32 s5, s[0:1], 0x44
	s_mov_b32 s16, 0
	s_waitcnt lgkmcnt(0)
	s_and_b32 s14, s5, 0xffff
.LBB2_2:
	s_or_saveexec_b32 s13, s4
	s_clause 0x1
	s_load_b64 s[10:11], s[0:1], 0x0
	s_load_b128 s[4:7], s[0:1], 0x18
	v_dual_mov_b32 v6, s16 :: v_dual_mov_b32 v5, s14
	s_mul_i32 s12, s15, s12
	s_xor_b32 exec_lo, exec_lo, s13
	s_cbranch_execz .LBB2_6
; %bb.3:
	s_load_b32 s14, s[0:1], 0x44
	v_dual_mov_b32 v2, 0 :: v_dual_mov_b32 v3, v0
	v_mov_b32_e32 v6, 0
	s_mov_b32 s16, 0
	s_waitcnt lgkmcnt(0)
	s_and_b32 s14, s14, 0xffff
.LBB2_4:                                ; =>This Inner Loop Header: Depth=1
	v_add_nc_u32_e32 v1, s12, v3
	v_add_nc_u32_e32 v3, s14, v3
	s_delay_alu instid0(VALU_DEP_2) | instskip(NEXT) | instid1(VALU_DEP_1)
	v_lshlrev_b64 v[4:5], 1, v[1:2]
	v_add_co_u32 v4, vcc_lo, s8, v4
	s_delay_alu instid0(VALU_DEP_2) | instskip(NEXT) | instid1(VALU_DEP_4)
	v_add_co_ci_u32_e32 v5, vcc_lo, s9, v5, vcc_lo
	v_cmp_le_i32_e32 vcc_lo, s3, v3
	global_load_u16 v1, v[4:5], off
	s_or_b32 s16, vcc_lo, s16
	s_waitcnt vmcnt(0)
	v_fma_mix_f32 v6, v1, v1, v6 op_sel_hi:[1,1,0]
	s_and_not1_b32 exec_lo, exec_lo, s16
	s_cbranch_execnz .LBB2_4
; %bb.5:
	s_or_b32 exec_lo, exec_lo, s16
	v_mov_b32_e32 v5, s14
.LBB2_6:
	s_or_b32 exec_lo, exec_lo, s13
	v_mbcnt_lo_u32_b32 v1, -1, 0
	v_and_b32_e32 v3, 0x3e0, v0
	s_mov_b32 s13, exec_lo
	s_delay_alu instid0(VALU_DEP_2) | instskip(NEXT) | instid1(VALU_DEP_2)
	v_cmp_ne_u32_e32 vcc_lo, 31, v1
	v_sub_nc_u32_e64 v13, v5, v3 clamp
	v_add_co_ci_u32_e32 v2, vcc_lo, 0, v1, vcc_lo
	v_cmp_gt_u32_e32 vcc_lo, 30, v1
	s_delay_alu instid0(VALU_DEP_2)
	v_lshlrev_b32_e32 v2, 2, v2
	v_cndmask_b32_e64 v7, 0, 1, vcc_lo
	ds_bpermute_b32 v4, v2, v6
	s_waitcnt lgkmcnt(0)
	v_dual_add_f32 v8, v6, v4 :: v_dual_lshlrev_b32 v7, 1, v7
	v_add_nc_u32_e32 v3, 1, v1
	s_delay_alu instid0(VALU_DEP_2) | instskip(NEXT) | instid1(VALU_DEP_2)
	v_add_lshl_u32 v4, v7, v1, 2
	v_cmp_lt_u32_e32 vcc_lo, v3, v13
	s_delay_alu instid0(VALU_DEP_4) | instskip(SKIP_3) | instid1(VALU_DEP_1)
	v_cndmask_b32_e32 v8, v6, v8, vcc_lo
	v_cmp_gt_u32_e32 vcc_lo, 28, v1
	ds_bpermute_b32 v7, v4, v8
	v_cndmask_b32_e64 v6, 0, 1, vcc_lo
	v_lshlrev_b32_e32 v9, 2, v6
	v_add_nc_u32_e32 v6, 2, v1
	s_delay_alu instid0(VALU_DEP_1) | instskip(SKIP_3) | instid1(VALU_DEP_2)
	v_cmp_lt_u32_e32 vcc_lo, v6, v13
	s_waitcnt lgkmcnt(0)
	v_add_f32_e32 v10, v8, v7
	v_add_lshl_u32 v7, v9, v1, 2
	v_cndmask_b32_e32 v10, v8, v10, vcc_lo
	v_cmp_gt_u32_e32 vcc_lo, 24, v1
	v_cndmask_b32_e64 v8, 0, 1, vcc_lo
	s_delay_alu instid0(VALU_DEP_1) | instskip(SKIP_2) | instid1(VALU_DEP_1)
	v_lshlrev_b32_e32 v11, 3, v8
	ds_bpermute_b32 v9, v7, v10
	v_add_nc_u32_e32 v8, 4, v1
	v_cmp_lt_u32_e32 vcc_lo, v8, v13
	s_waitcnt lgkmcnt(0)
	v_add_f32_e32 v12, v10, v9
	v_add_lshl_u32 v9, v11, v1, 2
	s_delay_alu instid0(VALU_DEP_2) | instskip(SKIP_3) | instid1(VALU_DEP_1)
	v_cndmask_b32_e32 v12, v10, v12, vcc_lo
	v_cmp_gt_u32_e32 vcc_lo, 16, v1
	ds_bpermute_b32 v11, v9, v12
	v_cndmask_b32_e64 v10, 0, 1, vcc_lo
	v_lshlrev_b32_e32 v14, 4, v10
	v_add_nc_u32_e32 v10, 8, v1
	s_delay_alu instid0(VALU_DEP_1) | instskip(SKIP_3) | instid1(VALU_DEP_2)
	v_cmp_lt_u32_e32 vcc_lo, v10, v13
	s_waitcnt lgkmcnt(0)
	v_add_f32_e32 v15, v12, v11
	v_add_lshl_u32 v11, v14, v1, 2
	v_cndmask_b32_e32 v14, v12, v15, vcc_lo
	v_add_nc_u32_e32 v12, 16, v1
	ds_bpermute_b32 v15, v11, v14
	v_cmp_lt_u32_e32 vcc_lo, v12, v13
	s_waitcnt lgkmcnt(0)
	v_add_f32_e32 v15, v14, v15
	s_delay_alu instid0(VALU_DEP_1)
	v_cndmask_b32_e32 v13, v14, v15, vcc_lo
	v_cmpx_eq_u32_e32 0, v1
	s_cbranch_execz .LBB2_8
; %bb.7:
	v_lshrrev_b32_e32 v14, 3, v0
	s_delay_alu instid0(VALU_DEP_1)
	v_and_b32_e32 v14, 0x7c, v14
	ds_store_b32 v14, v13
.LBB2_8:
	s_or_b32 exec_lo, exec_lo, s13
	s_delay_alu instid0(SALU_CYCLE_1)
	s_mov_b32 s13, exec_lo
	s_waitcnt lgkmcnt(0)
	s_barrier
	buffer_gl0_inv
	v_cmpx_gt_u32_e32 32, v0
	s_cbranch_execz .LBB2_10
; %bb.9:
	v_lshlrev_b32_e32 v1, 2, v1
	ds_load_b32 v1, v1
	s_waitcnt lgkmcnt(0)
	ds_bpermute_b32 v2, v2, v1
	s_waitcnt lgkmcnt(0)
	v_dual_add_f32 v2, v1, v2 :: v_dual_add_nc_u32 v13, 31, v5
	s_delay_alu instid0(VALU_DEP_1) | instskip(NEXT) | instid1(VALU_DEP_1)
	v_lshrrev_b32_e32 v13, 5, v13
	v_cmp_lt_u32_e32 vcc_lo, v3, v13
	s_delay_alu instid0(VALU_DEP_3) | instskip(SKIP_4) | instid1(VALU_DEP_1)
	v_cndmask_b32_e32 v1, v1, v2, vcc_lo
	v_cmp_lt_u32_e32 vcc_lo, v6, v13
	ds_bpermute_b32 v2, v4, v1
	s_waitcnt lgkmcnt(0)
	v_add_f32_e32 v2, v1, v2
	v_cndmask_b32_e32 v1, v1, v2, vcc_lo
	v_cmp_lt_u32_e32 vcc_lo, v8, v13
	ds_bpermute_b32 v2, v7, v1
	s_waitcnt lgkmcnt(0)
	v_add_f32_e32 v2, v1, v2
	s_delay_alu instid0(VALU_DEP_1) | instskip(SKIP_4) | instid1(VALU_DEP_1)
	v_cndmask_b32_e32 v1, v1, v2, vcc_lo
	v_cmp_lt_u32_e32 vcc_lo, v10, v13
	ds_bpermute_b32 v2, v9, v1
	s_waitcnt lgkmcnt(0)
	v_add_f32_e32 v2, v1, v2
	v_cndmask_b32_e32 v1, v1, v2, vcc_lo
	v_cmp_lt_u32_e32 vcc_lo, v12, v13
	ds_bpermute_b32 v2, v11, v1
	s_waitcnt lgkmcnt(0)
	v_add_f32_e32 v2, v1, v2
	s_delay_alu instid0(VALU_DEP_1)
	v_cndmask_b32_e32 v13, v1, v2, vcc_lo
.LBB2_10:
	s_or_b32 exec_lo, exec_lo, s13
	s_delay_alu instid0(SALU_CYCLE_1)
	s_mov_b32 s13, exec_lo
	v_cmpx_eq_u32_e32 0, v0
	s_cbranch_execz .LBB2_12
; %bb.11:
	v_cvt_f32_i32_e32 v1, s3
	s_load_b32 s0, s[0:1], 0x28
	s_delay_alu instid0(VALU_DEP_1) | instskip(SKIP_1) | instid1(VALU_DEP_2)
	v_div_scale_f32 v2, null, v1, v1, v13
	v_div_scale_f32 v6, vcc_lo, v13, v1, v13
	v_rcp_f32_e32 v3, v2
	s_waitcnt_depctr 0xfff
	v_fma_f32 v4, -v2, v3, 1.0
	s_delay_alu instid0(VALU_DEP_1) | instskip(NEXT) | instid1(VALU_DEP_1)
	v_fmac_f32_e32 v3, v4, v3
	v_mul_f32_e32 v4, v6, v3
	s_delay_alu instid0(VALU_DEP_1) | instskip(NEXT) | instid1(VALU_DEP_1)
	v_fma_f32 v7, -v2, v4, v6
	v_fmac_f32_e32 v4, v7, v3
	s_delay_alu instid0(VALU_DEP_1) | instskip(NEXT) | instid1(VALU_DEP_1)
	v_fma_f32 v2, -v2, v4, v6
	v_div_fmas_f32 v2, v2, v3, v4
	s_delay_alu instid0(VALU_DEP_1) | instskip(SKIP_1) | instid1(VALU_DEP_1)
	v_div_fixup_f32 v1, v2, v1, v13
	s_waitcnt lgkmcnt(0)
	v_add_f32_e32 v1, s0, v1
	s_delay_alu instid0(VALU_DEP_1) | instskip(SKIP_1) | instid1(VALU_DEP_2)
	v_mul_f32_e32 v2, 0x4b800000, v1
	v_cmp_gt_f32_e32 vcc_lo, 0x800000, v1
	v_cndmask_b32_e32 v1, v1, v2, vcc_lo
	s_delay_alu instid0(VALU_DEP_1) | instskip(SKIP_2) | instid1(VALU_DEP_1)
	v_rsq_f32_e32 v1, v1
	s_waitcnt_depctr 0xfff
	v_mul_f32_e32 v2, 0x45800000, v1
	v_dual_cndmask_b32 v1, v1, v2 :: v_dual_mov_b32 v2, 0
	ds_store_b32 v2, v1 offset:128
.LBB2_12:
	s_or_b32 exec_lo, exec_lo, s13
	s_waitcnt lgkmcnt(0)
	s_barrier
	buffer_gl0_inv
	s_and_saveexec_b32 s0, s2
	s_cbranch_execz .LBB2_31
; %bb.13:
	s_load_b32 s0, s[6:7], 0x0
	s_mul_i32 s15, s15, s3
	s_mov_b32 s2, 0
	s_mov_b32 s6, 0x43e00000
	s_waitcnt lgkmcnt(0)
	v_div_scale_f32 v1, null, s0, s0, 1.0
	v_div_scale_f32 v4, vcc_lo, 1.0, s0, 1.0
	s_delay_alu instid0(VALU_DEP_2) | instskip(SKIP_2) | instid1(VALU_DEP_1)
	v_rcp_f32_e32 v3, v1
	s_waitcnt_depctr 0xfff
	v_fma_f32 v2, -v1, v3, 1.0
	v_dual_fmac_f32 v3, v2, v3 :: v_dual_mov_b32 v2, 0
	s_delay_alu instid0(VALU_DEP_1) | instskip(NEXT) | instid1(VALU_DEP_1)
	v_mul_f32_e32 v7, v4, v3
	v_fma_f32 v6, -v1, v7, v4
	s_delay_alu instid0(VALU_DEP_1) | instskip(SKIP_2) | instid1(VALU_DEP_1)
	v_fmac_f32_e32 v7, v6, v3
	ds_load_b32 v6, v2 offset:128
	v_fma_f32 v1, -v1, v7, v4
	v_div_fmas_f32 v1, v1, v3, v7
	s_delay_alu instid0(VALU_DEP_1)
	v_div_fixup_f32 v7, v1, s0, 1.0
	s_branch .LBB2_15
.LBB2_14:                               ;   in Loop: Header=BB2_15 Depth=1
	s_or_b32 exec_lo, exec_lo, s0
	v_add_nc_u32_e32 v1, s15, v0
	v_add_nc_u32_e32 v0, v0, v5
	global_store_b8 v1, v4, s[10:11]
	v_cmp_le_i32_e32 vcc_lo, s3, v0
	s_or_b32 s2, vcc_lo, s2
	s_delay_alu instid0(SALU_CYCLE_1)
	s_and_not1_b32 exec_lo, exec_lo, s2
	s_cbranch_execz .LBB2_31
.LBB2_15:                               ; =>This Inner Loop Header: Depth=1
	v_add_nc_u32_e32 v1, s12, v0
	s_mov_b32 s0, exec_lo
	s_delay_alu instid0(VALU_DEP_1) | instskip(SKIP_1) | instid1(VALU_DEP_1)
	v_lshlrev_b64 v[3:4], 1, v[1:2]
	v_ashrrev_i32_e32 v1, 31, v0
	v_lshlrev_b64 v[8:9], 1, v[0:1]
	s_delay_alu instid0(VALU_DEP_3) | instskip(NEXT) | instid1(VALU_DEP_4)
	v_add_co_u32 v3, vcc_lo, s8, v3
	v_add_co_ci_u32_e32 v4, vcc_lo, s9, v4, vcc_lo
	global_load_u16 v1, v[3:4], off
	v_add_co_u32 v3, vcc_lo, s4, v8
	v_add_co_ci_u32_e32 v4, vcc_lo, s5, v9, vcc_lo
	global_load_u16 v3, v[3:4], off
	s_waitcnt vmcnt(1) lgkmcnt(0)
	v_fma_mixlo_f16 v1, v6, v1, 0 op_sel_hi:[0,1,0]
	s_waitcnt vmcnt(0)
	s_delay_alu instid0(VALU_DEP_1) | instskip(NEXT) | instid1(VALU_DEP_1)
	v_mul_f16_e32 v1, v3, v1
	v_cvt_f32_f16_e32 v1, v1
	s_delay_alu instid0(VALU_DEP_1) | instskip(NEXT) | instid1(VALU_DEP_1)
	v_mul_f32_e32 v1, v7, v1
	v_minmax_f32 v3, v1, s6, 0xc3e00000
	s_delay_alu instid0(VALU_DEP_1) | instskip(SKIP_3) | instid1(VALU_DEP_3)
	v_and_b32_e32 v10, 0x7f800000, v3
	v_lshrrev_b32_e32 v9, 24, v3
	v_mov_b32_e32 v11, v2
	v_and_b32_e32 v1, 0x7fffff, v3
	v_and_b32_e32 v8, 0x80, v9
	s_delay_alu instid0(VALU_DEP_1) | instskip(NEXT) | instid1(VALU_DEP_4)
	v_or_b32_e32 v4, 0x7e, v8
	v_cmpx_ne_u64_e32 0x7f800000, v[10:11]
	s_xor_b32 s7, exec_lo, s0
	s_cbranch_execz .LBB2_29
; %bb.16:                               ;   in Loop: Header=BB2_15 Depth=1
	v_dual_mov_b32 v10, v2 :: v_dual_and_b32 v9, 0x7fffffff, v3
	s_mov_b32 s0, exec_lo
	s_delay_alu instid0(VALU_DEP_1)
	v_cmpx_gt_u64_e32 0x43e00001, v[9:10]
	s_xor_b32 s13, exec_lo, s0
	s_cbranch_execz .LBB2_28
; %bb.17:                               ;   in Loop: Header=BB2_15 Depth=1
	v_mov_b32_e32 v4, 0
	s_mov_b32 s14, exec_lo
	v_cmpx_ne_u32_e32 0, v3
	s_cbranch_execz .LBB2_27
; %bb.18:                               ;   in Loop: Header=BB2_15 Depth=1
	v_bfe_u32 v13, v3, 23, 8
	s_delay_alu instid0(VALU_DEP_1) | instskip(SKIP_2) | instid1(VALU_DEP_3)
	v_sub_nc_u32_e64 v3, 0x79, v13 clamp
	v_cmp_eq_u32_e32 vcc_lo, 0, v13
	v_add_nc_u32_e32 v13, 0xffffff88, v13
	v_cndmask_b32_e64 v14, v3, 0x78, vcc_lo
	v_or_b32_e32 v3, 0x800000, v1
	s_delay_alu instid0(VALU_DEP_1) | instskip(SKIP_1) | instid1(VALU_DEP_2)
	v_dual_cndmask_b32 v1, v3, v1 :: v_dual_add_nc_u32 v4, 20, v14
	v_add_nc_u32_e32 v9, 19, v14
	v_lshlrev_b64 v[3:4], v4, -1
	s_delay_alu instid0(VALU_DEP_3) | instskip(NEXT) | instid1(VALU_DEP_2)
	v_lshrrev_b64 v[11:12], v14, v[1:2]
	v_not_b32_e32 v10, v4
	s_delay_alu instid0(VALU_DEP_3) | instskip(SKIP_1) | instid1(VALU_DEP_3)
	v_not_b32_e32 v15, v3
	v_lshlrev_b64 v[3:4], v9, 1
	v_and_b32_e32 v10, 0, v10
	s_delay_alu instid0(VALU_DEP_3) | instskip(SKIP_1) | instid1(VALU_DEP_2)
	v_and_b32_e32 v9, v1, v15
	v_and_b32_e32 v1, 0x100000, v11
	v_cmp_eq_u64_e64 s0, v[9:10], v[3:4]
	s_delay_alu instid0(VALU_DEP_2) | instskip(SKIP_2) | instid1(VALU_DEP_3)
	v_cmp_eq_u64_e64 s1, 0, v[1:2]
	v_cndmask_b32_e64 v1, v13, 0xffffff89, vcc_lo
	v_lshrrev_b32_e32 v3, 23, v11
	s_and_b32 vcc_lo, s1, s0
	s_delay_alu instid0(VALU_DEP_1) | instskip(SKIP_2) | instid1(VALU_DEP_2)
	v_add3_u32 v9, v1, v14, v3
	v_subrev_co_ci_u32_e32 v4, vcc_lo, 0, v11, vcc_lo
	s_mov_b32 s0, exec_lo
	v_add_nc_u32_e32 v10, -1, v9
	s_delay_alu instid0(VALU_DEP_2) | instskip(NEXT) | instid1(VALU_DEP_1)
	v_and_b32_e32 v1, 0xfffff, v4
	v_add_co_u32 v3, vcc_lo, v1, v11
	v_add_co_ci_u32_e32 v4, vcc_lo, 0, v12, vcc_lo
                                        ; implicit-def: $vgpr1
	s_delay_alu instid0(VALU_DEP_4)
	v_cmpx_ne_u32_e32 0, v10
	s_xor_b32 s0, exec_lo, s0
; %bb.19:                               ;   in Loop: Header=BB2_15 Depth=1
	s_delay_alu instid0(VALU_DEP_3) | instskip(SKIP_1) | instid1(VALU_DEP_2)
	v_and_b32_e32 v1, 0x1000000, v3
	v_bfe_u32 v11, v3, 24, 1
	v_cmp_eq_u64_e32 vcc_lo, 0, v[1:2]
	s_delay_alu instid0(VALU_DEP_2)
	v_lshrrev_b64 v[3:4], v11, v[3:4]
	v_cndmask_b32_e32 v1, v9, v10, vcc_lo
; %bb.20:                               ;   in Loop: Header=BB2_15 Depth=1
	s_and_not1_saveexec_b32 s0, s0
; %bb.21:                               ;   in Loop: Header=BB2_15 Depth=1
	s_delay_alu instid0(VALU_DEP_2)
	v_bfe_u32 v1, v3, 23, 1
; %bb.22:                               ;   in Loop: Header=BB2_15 Depth=1
	s_or_b32 exec_lo, exec_lo, s0
	s_delay_alu instid0(VALU_DEP_3) | instskip(NEXT) | instid1(VALU_DEP_2)
	v_lshrrev_b64 v[3:4], 20, v[3:4]
	v_cmp_gt_i32_e32 vcc_lo, 16, v1
	v_cmp_ne_u32_e64 s0, 0, v1
	s_delay_alu instid0(VALU_DEP_3) | instskip(NEXT) | instid1(VALU_DEP_1)
	v_dual_cndmask_b32 v4, 0, v4 :: v_dual_cndmask_b32 v3, 7, v3
	v_cmp_ne_u64_e32 vcc_lo, 0, v[3:4]
                                        ; implicit-def: $vgpr4
	s_delay_alu instid0(VALU_DEP_3) | instskip(NEXT) | instid1(SALU_CYCLE_1)
	s_or_b32 s0, s0, vcc_lo
	s_and_saveexec_b32 s1, s0
	s_delay_alu instid0(SALU_CYCLE_1)
	s_xor_b32 s0, exec_lo, s1
; %bb.23:                               ;   in Loop: Header=BB2_15 Depth=1
	v_min_i32_e32 v1, 15, v1
	s_delay_alu instid0(VALU_DEP_1) | instskip(NEXT) | instid1(VALU_DEP_1)
	v_lshl_or_b32 v1, v1, 3, v8
                                        ; implicit-def: $vgpr8
	v_and_or_b32 v4, v3, 7, v1
; %bb.24:                               ;   in Loop: Header=BB2_15 Depth=1
	s_and_not1_saveexec_b32 s0, s0
; %bb.25:                               ;   in Loop: Header=BB2_15 Depth=1
	v_mov_b32_e32 v4, v8
; %bb.26:                               ;   in Loop: Header=BB2_15 Depth=1
	s_or_b32 exec_lo, exec_lo, s0
.LBB2_27:                               ;   in Loop: Header=BB2_15 Depth=1
	s_delay_alu instid0(SALU_CYCLE_1)
	s_or_b32 exec_lo, exec_lo, s14
.LBB2_28:                               ;   in Loop: Header=BB2_15 Depth=1
	s_and_not1_saveexec_b32 s0, s13
	s_delay_alu instid0(SALU_CYCLE_1)
	s_or_b32 exec_lo, exec_lo, s0
                                        ; implicit-def: $vgpr9
.LBB2_29:                               ;   in Loop: Header=BB2_15 Depth=1
	s_and_not1_saveexec_b32 s0, s7
	s_cbranch_execz .LBB2_14
; %bb.30:                               ;   in Loop: Header=BB2_15 Depth=1
	v_cmp_eq_u64_e32 vcc_lo, 0, v[1:2]
	v_or_b32_e32 v3, 0x7f, v9
	s_delay_alu instid0(VALU_DEP_1)
	v_cndmask_b32_e32 v4, v3, v4, vcc_lo
	s_branch .LBB2_14
.LBB2_31:
	s_nop 0
	s_sendmsg sendmsg(MSG_DEALLOC_VGPRS)
	s_endpgm
	.section	.rodata,"a",@progbits
	.p2align	6, 0x0
	.amdhsa_kernel _ZN4vllm32rms_norm_static_fp8_quant_kernelIN3c104HalfENS1_13Float8_e4m3fnEEEvPT0_PKT_iS8_PKffii
		.amdhsa_group_segment_fixed_size 132
		.amdhsa_private_segment_fixed_size 0
		.amdhsa_kernarg_size 312
		.amdhsa_user_sgpr_count 15
		.amdhsa_user_sgpr_dispatch_ptr 0
		.amdhsa_user_sgpr_queue_ptr 0
		.amdhsa_user_sgpr_kernarg_segment_ptr 1
		.amdhsa_user_sgpr_dispatch_id 0
		.amdhsa_user_sgpr_private_segment_size 0
		.amdhsa_wavefront_size32 1
		.amdhsa_uses_dynamic_stack 0
		.amdhsa_enable_private_segment 0
		.amdhsa_system_sgpr_workgroup_id_x 1
		.amdhsa_system_sgpr_workgroup_id_y 0
		.amdhsa_system_sgpr_workgroup_id_z 0
		.amdhsa_system_sgpr_workgroup_info 0
		.amdhsa_system_vgpr_workitem_id 0
		.amdhsa_next_free_vgpr 16
		.amdhsa_next_free_sgpr 17
		.amdhsa_reserve_vcc 1
		.amdhsa_float_round_mode_32 0
		.amdhsa_float_round_mode_16_64 0
		.amdhsa_float_denorm_mode_32 3
		.amdhsa_float_denorm_mode_16_64 3
		.amdhsa_dx10_clamp 1
		.amdhsa_ieee_mode 1
		.amdhsa_fp16_overflow 0
		.amdhsa_workgroup_processor_mode 1
		.amdhsa_memory_ordered 1
		.amdhsa_forward_progress 0
		.amdhsa_shared_vgpr_count 0
		.amdhsa_exception_fp_ieee_invalid_op 0
		.amdhsa_exception_fp_denorm_src 0
		.amdhsa_exception_fp_ieee_div_zero 0
		.amdhsa_exception_fp_ieee_overflow 0
		.amdhsa_exception_fp_ieee_underflow 0
		.amdhsa_exception_fp_ieee_inexact 0
		.amdhsa_exception_int_div_zero 0
	.end_amdhsa_kernel
	.section	.text._ZN4vllm32rms_norm_static_fp8_quant_kernelIN3c104HalfENS1_13Float8_e4m3fnEEEvPT0_PKT_iS8_PKffii,"axG",@progbits,_ZN4vllm32rms_norm_static_fp8_quant_kernelIN3c104HalfENS1_13Float8_e4m3fnEEEvPT0_PKT_iS8_PKffii,comdat
.Lfunc_end2:
	.size	_ZN4vllm32rms_norm_static_fp8_quant_kernelIN3c104HalfENS1_13Float8_e4m3fnEEEvPT0_PKT_iS8_PKffii, .Lfunc_end2-_ZN4vllm32rms_norm_static_fp8_quant_kernelIN3c104HalfENS1_13Float8_e4m3fnEEEvPT0_PKT_iS8_PKffii
                                        ; -- End function
	.section	.AMDGPU.csdata,"",@progbits
; Kernel info:
; codeLenInByte = 1880
; NumSgprs: 19
; NumVgprs: 16
; ScratchSize: 0
; MemoryBound: 0
; FloatMode: 240
; IeeeMode: 1
; LDSByteSize: 132 bytes/workgroup (compile time only)
; SGPRBlocks: 2
; VGPRBlocks: 1
; NumSGPRsForWavesPerEU: 19
; NumVGPRsForWavesPerEU: 16
; Occupancy: 16
; WaveLimiterHint : 0
; COMPUTE_PGM_RSRC2:SCRATCH_EN: 0
; COMPUTE_PGM_RSRC2:USER_SGPR: 15
; COMPUTE_PGM_RSRC2:TRAP_HANDLER: 0
; COMPUTE_PGM_RSRC2:TGID_X_EN: 1
; COMPUTE_PGM_RSRC2:TGID_Y_EN: 0
; COMPUTE_PGM_RSRC2:TGID_Z_EN: 0
; COMPUTE_PGM_RSRC2:TIDIG_COMP_CNT: 0
	.section	.text._ZN4vllm32rms_norm_static_fp8_quant_kernelIN3c104HalfENS1_15Float8_e4m3fnuzEEEvPT0_PKT_iS8_PKffii,"axG",@progbits,_ZN4vllm32rms_norm_static_fp8_quant_kernelIN3c104HalfENS1_15Float8_e4m3fnuzEEEvPT0_PKT_iS8_PKffii,comdat
	.protected	_ZN4vllm32rms_norm_static_fp8_quant_kernelIN3c104HalfENS1_15Float8_e4m3fnuzEEEvPT0_PKT_iS8_PKffii ; -- Begin function _ZN4vllm32rms_norm_static_fp8_quant_kernelIN3c104HalfENS1_15Float8_e4m3fnuzEEEvPT0_PKT_iS8_PKffii
	.globl	_ZN4vllm32rms_norm_static_fp8_quant_kernelIN3c104HalfENS1_15Float8_e4m3fnuzEEEvPT0_PKT_iS8_PKffii
	.p2align	8
	.type	_ZN4vllm32rms_norm_static_fp8_quant_kernelIN3c104HalfENS1_15Float8_e4m3fnuzEEEvPT0_PKT_iS8_PKffii,@function
_ZN4vllm32rms_norm_static_fp8_quant_kernelIN3c104HalfENS1_15Float8_e4m3fnuzEEEvPT0_PKT_iS8_PKffii: ; @_ZN4vllm32rms_norm_static_fp8_quant_kernelIN3c104HalfENS1_15Float8_e4m3fnuzEEEvPT0_PKT_iS8_PKffii
; %bb.0:
	s_clause 0x2
	s_load_b32 s3, s[0:1], 0x30
	s_load_b64 s[8:9], s[0:1], 0x8
	s_load_b32 s12, s[0:1], 0x10
	s_mov_b32 s4, exec_lo
                                        ; implicit-def: $sgpr16
                                        ; implicit-def: $sgpr14
	s_waitcnt lgkmcnt(0)
	v_cmp_gt_i32_e64 s2, s3, v0
	v_cmpx_le_i32_e64 s3, v0
	s_xor_b32 s4, exec_lo, s4
	s_cbranch_execz .LBB3_2
; %bb.1:
	s_load_b32 s5, s[0:1], 0x44
	s_mov_b32 s16, 0
	s_waitcnt lgkmcnt(0)
	s_and_b32 s14, s5, 0xffff
.LBB3_2:
	s_or_saveexec_b32 s13, s4
	s_clause 0x1
	s_load_b64 s[10:11], s[0:1], 0x0
	s_load_b128 s[4:7], s[0:1], 0x18
	v_dual_mov_b32 v6, s16 :: v_dual_mov_b32 v5, s14
	s_mul_i32 s12, s15, s12
	s_xor_b32 exec_lo, exec_lo, s13
	s_cbranch_execz .LBB3_6
; %bb.3:
	s_load_b32 s14, s[0:1], 0x44
	v_dual_mov_b32 v2, 0 :: v_dual_mov_b32 v3, v0
	v_mov_b32_e32 v6, 0
	s_mov_b32 s16, 0
	s_waitcnt lgkmcnt(0)
	s_and_b32 s14, s14, 0xffff
.LBB3_4:                                ; =>This Inner Loop Header: Depth=1
	v_add_nc_u32_e32 v1, s12, v3
	v_add_nc_u32_e32 v3, s14, v3
	s_delay_alu instid0(VALU_DEP_2) | instskip(NEXT) | instid1(VALU_DEP_1)
	v_lshlrev_b64 v[4:5], 1, v[1:2]
	v_add_co_u32 v4, vcc_lo, s8, v4
	s_delay_alu instid0(VALU_DEP_2) | instskip(NEXT) | instid1(VALU_DEP_4)
	v_add_co_ci_u32_e32 v5, vcc_lo, s9, v5, vcc_lo
	v_cmp_le_i32_e32 vcc_lo, s3, v3
	global_load_u16 v1, v[4:5], off
	s_or_b32 s16, vcc_lo, s16
	s_waitcnt vmcnt(0)
	v_fma_mix_f32 v6, v1, v1, v6 op_sel_hi:[1,1,0]
	s_and_not1_b32 exec_lo, exec_lo, s16
	s_cbranch_execnz .LBB3_4
; %bb.5:
	s_or_b32 exec_lo, exec_lo, s16
	v_mov_b32_e32 v5, s14
.LBB3_6:
	s_or_b32 exec_lo, exec_lo, s13
	v_mbcnt_lo_u32_b32 v1, -1, 0
	v_and_b32_e32 v3, 0x3e0, v0
	s_mov_b32 s13, exec_lo
	s_delay_alu instid0(VALU_DEP_2) | instskip(NEXT) | instid1(VALU_DEP_2)
	v_cmp_ne_u32_e32 vcc_lo, 31, v1
	v_sub_nc_u32_e64 v13, v5, v3 clamp
	v_add_co_ci_u32_e32 v2, vcc_lo, 0, v1, vcc_lo
	v_cmp_gt_u32_e32 vcc_lo, 30, v1
	s_delay_alu instid0(VALU_DEP_2)
	v_lshlrev_b32_e32 v2, 2, v2
	v_cndmask_b32_e64 v7, 0, 1, vcc_lo
	ds_bpermute_b32 v4, v2, v6
	s_waitcnt lgkmcnt(0)
	v_dual_add_f32 v8, v6, v4 :: v_dual_lshlrev_b32 v7, 1, v7
	v_add_nc_u32_e32 v3, 1, v1
	s_delay_alu instid0(VALU_DEP_2) | instskip(NEXT) | instid1(VALU_DEP_2)
	v_add_lshl_u32 v4, v7, v1, 2
	v_cmp_lt_u32_e32 vcc_lo, v3, v13
	s_delay_alu instid0(VALU_DEP_4) | instskip(SKIP_3) | instid1(VALU_DEP_1)
	v_cndmask_b32_e32 v8, v6, v8, vcc_lo
	v_cmp_gt_u32_e32 vcc_lo, 28, v1
	ds_bpermute_b32 v7, v4, v8
	v_cndmask_b32_e64 v6, 0, 1, vcc_lo
	v_lshlrev_b32_e32 v9, 2, v6
	v_add_nc_u32_e32 v6, 2, v1
	s_delay_alu instid0(VALU_DEP_1) | instskip(SKIP_3) | instid1(VALU_DEP_2)
	v_cmp_lt_u32_e32 vcc_lo, v6, v13
	s_waitcnt lgkmcnt(0)
	v_add_f32_e32 v10, v8, v7
	v_add_lshl_u32 v7, v9, v1, 2
	v_cndmask_b32_e32 v10, v8, v10, vcc_lo
	v_cmp_gt_u32_e32 vcc_lo, 24, v1
	v_cndmask_b32_e64 v8, 0, 1, vcc_lo
	s_delay_alu instid0(VALU_DEP_1) | instskip(SKIP_2) | instid1(VALU_DEP_1)
	v_lshlrev_b32_e32 v11, 3, v8
	ds_bpermute_b32 v9, v7, v10
	v_add_nc_u32_e32 v8, 4, v1
	v_cmp_lt_u32_e32 vcc_lo, v8, v13
	s_waitcnt lgkmcnt(0)
	v_add_f32_e32 v12, v10, v9
	v_add_lshl_u32 v9, v11, v1, 2
	s_delay_alu instid0(VALU_DEP_2) | instskip(SKIP_3) | instid1(VALU_DEP_1)
	v_cndmask_b32_e32 v12, v10, v12, vcc_lo
	v_cmp_gt_u32_e32 vcc_lo, 16, v1
	ds_bpermute_b32 v11, v9, v12
	v_cndmask_b32_e64 v10, 0, 1, vcc_lo
	v_lshlrev_b32_e32 v14, 4, v10
	v_add_nc_u32_e32 v10, 8, v1
	s_delay_alu instid0(VALU_DEP_1) | instskip(SKIP_3) | instid1(VALU_DEP_2)
	v_cmp_lt_u32_e32 vcc_lo, v10, v13
	s_waitcnt lgkmcnt(0)
	v_add_f32_e32 v15, v12, v11
	v_add_lshl_u32 v11, v14, v1, 2
	v_cndmask_b32_e32 v14, v12, v15, vcc_lo
	v_add_nc_u32_e32 v12, 16, v1
	ds_bpermute_b32 v15, v11, v14
	v_cmp_lt_u32_e32 vcc_lo, v12, v13
	s_waitcnt lgkmcnt(0)
	v_add_f32_e32 v15, v14, v15
	s_delay_alu instid0(VALU_DEP_1)
	v_cndmask_b32_e32 v13, v14, v15, vcc_lo
	v_cmpx_eq_u32_e32 0, v1
	s_cbranch_execz .LBB3_8
; %bb.7:
	v_lshrrev_b32_e32 v14, 3, v0
	s_delay_alu instid0(VALU_DEP_1)
	v_and_b32_e32 v14, 0x7c, v14
	ds_store_b32 v14, v13
.LBB3_8:
	s_or_b32 exec_lo, exec_lo, s13
	s_delay_alu instid0(SALU_CYCLE_1)
	s_mov_b32 s13, exec_lo
	s_waitcnt lgkmcnt(0)
	s_barrier
	buffer_gl0_inv
	v_cmpx_gt_u32_e32 32, v0
	s_cbranch_execz .LBB3_10
; %bb.9:
	v_lshlrev_b32_e32 v1, 2, v1
	ds_load_b32 v1, v1
	s_waitcnt lgkmcnt(0)
	ds_bpermute_b32 v2, v2, v1
	s_waitcnt lgkmcnt(0)
	v_dual_add_f32 v2, v1, v2 :: v_dual_add_nc_u32 v13, 31, v5
	s_delay_alu instid0(VALU_DEP_1) | instskip(NEXT) | instid1(VALU_DEP_1)
	v_lshrrev_b32_e32 v13, 5, v13
	v_cmp_lt_u32_e32 vcc_lo, v3, v13
	s_delay_alu instid0(VALU_DEP_3) | instskip(SKIP_4) | instid1(VALU_DEP_1)
	v_cndmask_b32_e32 v1, v1, v2, vcc_lo
	v_cmp_lt_u32_e32 vcc_lo, v6, v13
	ds_bpermute_b32 v2, v4, v1
	s_waitcnt lgkmcnt(0)
	v_add_f32_e32 v2, v1, v2
	v_cndmask_b32_e32 v1, v1, v2, vcc_lo
	v_cmp_lt_u32_e32 vcc_lo, v8, v13
	ds_bpermute_b32 v2, v7, v1
	s_waitcnt lgkmcnt(0)
	v_add_f32_e32 v2, v1, v2
	s_delay_alu instid0(VALU_DEP_1) | instskip(SKIP_4) | instid1(VALU_DEP_1)
	v_cndmask_b32_e32 v1, v1, v2, vcc_lo
	v_cmp_lt_u32_e32 vcc_lo, v10, v13
	ds_bpermute_b32 v2, v9, v1
	s_waitcnt lgkmcnt(0)
	v_add_f32_e32 v2, v1, v2
	v_cndmask_b32_e32 v1, v1, v2, vcc_lo
	v_cmp_lt_u32_e32 vcc_lo, v12, v13
	ds_bpermute_b32 v2, v11, v1
	s_waitcnt lgkmcnt(0)
	v_add_f32_e32 v2, v1, v2
	s_delay_alu instid0(VALU_DEP_1)
	v_cndmask_b32_e32 v13, v1, v2, vcc_lo
.LBB3_10:
	s_or_b32 exec_lo, exec_lo, s13
	s_delay_alu instid0(SALU_CYCLE_1)
	s_mov_b32 s13, exec_lo
	v_cmpx_eq_u32_e32 0, v0
	s_cbranch_execz .LBB3_12
; %bb.11:
	v_cvt_f32_i32_e32 v1, s3
	s_load_b32 s0, s[0:1], 0x28
	s_delay_alu instid0(VALU_DEP_1) | instskip(SKIP_1) | instid1(VALU_DEP_2)
	v_div_scale_f32 v2, null, v1, v1, v13
	v_div_scale_f32 v6, vcc_lo, v13, v1, v13
	v_rcp_f32_e32 v3, v2
	s_waitcnt_depctr 0xfff
	v_fma_f32 v4, -v2, v3, 1.0
	s_delay_alu instid0(VALU_DEP_1) | instskip(NEXT) | instid1(VALU_DEP_1)
	v_fmac_f32_e32 v3, v4, v3
	v_mul_f32_e32 v4, v6, v3
	s_delay_alu instid0(VALU_DEP_1) | instskip(NEXT) | instid1(VALU_DEP_1)
	v_fma_f32 v7, -v2, v4, v6
	v_fmac_f32_e32 v4, v7, v3
	s_delay_alu instid0(VALU_DEP_1) | instskip(NEXT) | instid1(VALU_DEP_1)
	v_fma_f32 v2, -v2, v4, v6
	v_div_fmas_f32 v2, v2, v3, v4
	s_delay_alu instid0(VALU_DEP_1) | instskip(SKIP_1) | instid1(VALU_DEP_1)
	v_div_fixup_f32 v1, v2, v1, v13
	s_waitcnt lgkmcnt(0)
	v_add_f32_e32 v1, s0, v1
	s_delay_alu instid0(VALU_DEP_1) | instskip(SKIP_1) | instid1(VALU_DEP_2)
	v_mul_f32_e32 v2, 0x4b800000, v1
	v_cmp_gt_f32_e32 vcc_lo, 0x800000, v1
	v_cndmask_b32_e32 v1, v1, v2, vcc_lo
	s_delay_alu instid0(VALU_DEP_1) | instskip(SKIP_2) | instid1(VALU_DEP_1)
	v_rsq_f32_e32 v1, v1
	s_waitcnt_depctr 0xfff
	v_mul_f32_e32 v2, 0x45800000, v1
	v_dual_cndmask_b32 v1, v1, v2 :: v_dual_mov_b32 v2, 0
	ds_store_b32 v2, v1 offset:128
.LBB3_12:
	s_or_b32 exec_lo, exec_lo, s13
	s_waitcnt lgkmcnt(0)
	s_barrier
	buffer_gl0_inv
	s_and_saveexec_b32 s0, s2
	s_cbranch_execz .LBB3_25
; %bb.13:
	s_load_b32 s0, s[6:7], 0x0
	s_mul_i32 s15, s15, s3
	s_mov_b32 s2, 0
	s_mov_b32 s6, 0x43600000
	s_waitcnt lgkmcnt(0)
	v_div_scale_f32 v1, null, s0, s0, 1.0
	v_div_scale_f32 v4, vcc_lo, 1.0, s0, 1.0
	s_delay_alu instid0(VALU_DEP_2) | instskip(SKIP_2) | instid1(VALU_DEP_1)
	v_rcp_f32_e32 v3, v1
	s_waitcnt_depctr 0xfff
	v_fma_f32 v2, -v1, v3, 1.0
	v_dual_fmac_f32 v3, v2, v3 :: v_dual_mov_b32 v2, 0
	s_delay_alu instid0(VALU_DEP_1) | instskip(NEXT) | instid1(VALU_DEP_1)
	v_mul_f32_e32 v7, v4, v3
	v_fma_f32 v6, -v1, v7, v4
	s_delay_alu instid0(VALU_DEP_1) | instskip(SKIP_2) | instid1(VALU_DEP_1)
	v_fmac_f32_e32 v7, v6, v3
	ds_load_b32 v6, v2 offset:128
	v_fma_f32 v1, -v1, v7, v4
	v_div_fmas_f32 v1, v1, v3, v7
	s_delay_alu instid0(VALU_DEP_1)
	v_div_fixup_f32 v7, v1, s0, 1.0
	s_branch .LBB3_18
.LBB3_14:                               ;   in Loop: Header=BB3_18 Depth=1
	s_or_b32 exec_lo, exec_lo, s0
	s_delay_alu instid0(VALU_DEP_2) | instskip(NEXT) | instid1(VALU_DEP_2)
	v_lshrrev_b64 v[3:4], 20, v[3:4]
	v_cmp_gt_i32_e32 vcc_lo, 16, v1
	v_and_b32_e32 v8, 0x80, v8
	v_min_i32_e32 v9, 15, v1
	v_cmp_eq_u32_e64 s0, 0, v1
	v_dual_cndmask_b32 v3, 7, v3 :: v_dual_cndmask_b32 v4, 0, v4
	s_delay_alu instid0(VALU_DEP_3) | instskip(NEXT) | instid1(VALU_DEP_2)
	v_lshl_or_b32 v8, v9, 3, v8
	v_cmp_eq_u64_e32 vcc_lo, 0, v[3:4]
	s_delay_alu instid0(VALU_DEP_2)
	v_and_or_b32 v1, v3, 7, v8
	s_and_b32 s0, s0, vcc_lo
	s_delay_alu instid0(VALU_DEP_1) | instid1(SALU_CYCLE_1)
	v_cndmask_b32_e64 v3, v1, 0, s0
.LBB3_15:                               ;   in Loop: Header=BB3_18 Depth=1
	s_or_b32 exec_lo, exec_lo, s14
.LBB3_16:                               ;   in Loop: Header=BB3_18 Depth=1
	s_and_not1_saveexec_b32 s0, s13
	s_delay_alu instid0(SALU_CYCLE_1)
	s_or_b32 exec_lo, exec_lo, s0
.LBB3_17:                               ;   in Loop: Header=BB3_18 Depth=1
	s_and_not1_saveexec_b32 s0, s7
	s_delay_alu instid0(SALU_CYCLE_1)
	s_or_b32 exec_lo, exec_lo, s0
	v_add_nc_u32_e32 v1, s15, v0
	v_add_nc_u32_e32 v0, v0, v5
	global_store_b8 v1, v3, s[10:11]
	v_cmp_le_i32_e32 vcc_lo, s3, v0
	s_or_b32 s2, vcc_lo, s2
	s_delay_alu instid0(SALU_CYCLE_1)
	s_and_not1_b32 exec_lo, exec_lo, s2
	s_cbranch_execz .LBB3_25
.LBB3_18:                               ; =>This Inner Loop Header: Depth=1
	v_add_nc_u32_e32 v1, s12, v0
	s_mov_b32 s0, exec_lo
	s_delay_alu instid0(VALU_DEP_1) | instskip(SKIP_1) | instid1(VALU_DEP_1)
	v_lshlrev_b64 v[3:4], 1, v[1:2]
	v_ashrrev_i32_e32 v1, 31, v0
	v_lshlrev_b64 v[8:9], 1, v[0:1]
	s_delay_alu instid0(VALU_DEP_3) | instskip(NEXT) | instid1(VALU_DEP_4)
	v_add_co_u32 v3, vcc_lo, s8, v3
	v_add_co_ci_u32_e32 v4, vcc_lo, s9, v4, vcc_lo
	global_load_u16 v1, v[3:4], off
	v_add_co_u32 v3, vcc_lo, s4, v8
	v_add_co_ci_u32_e32 v4, vcc_lo, s5, v9, vcc_lo
	global_load_u16 v3, v[3:4], off
	s_waitcnt vmcnt(1) lgkmcnt(0)
	v_fma_mixlo_f16 v1, v6, v1, 0 op_sel_hi:[0,1,0]
	s_waitcnt vmcnt(0)
	s_delay_alu instid0(VALU_DEP_1) | instskip(NEXT) | instid1(VALU_DEP_1)
	v_mul_f16_e32 v1, v3, v1
	v_cvt_f32_f16_e32 v1, v1
	s_delay_alu instid0(VALU_DEP_1) | instskip(NEXT) | instid1(VALU_DEP_1)
	v_mul_f32_e32 v1, v7, v1
	v_minmax_f32 v4, v1, s6, 0xc3600000
	s_delay_alu instid0(VALU_DEP_1) | instskip(SKIP_1) | instid1(VALU_DEP_2)
	v_lshrrev_b32_e32 v8, 24, v4
	v_and_b32_e32 v1, 0x7f800000, v4
	v_or_b32_e32 v3, 0x7f, v8
	s_delay_alu instid0(VALU_DEP_2)
	v_cmpx_ne_u64_e32 0x7f800000, v[1:2]
	s_xor_b32 s7, exec_lo, s0
	s_cbranch_execz .LBB3_17
; %bb.19:                               ;   in Loop: Header=BB3_18 Depth=1
	v_and_b32_e32 v1, 0x7fffffff, v4
	s_mov_b32 s0, exec_lo
	s_delay_alu instid0(VALU_DEP_1)
	v_cmpx_gt_u64_e32 0x43700001, v[1:2]
	s_xor_b32 s13, exec_lo, s0
	s_cbranch_execz .LBB3_16
; %bb.20:                               ;   in Loop: Header=BB3_18 Depth=1
	v_mov_b32_e32 v3, 0
	s_mov_b32 s14, exec_lo
	v_cmpx_ne_u32_e32 0, v4
	s_cbranch_execz .LBB3_15
; %bb.21:                               ;   in Loop: Header=BB3_18 Depth=1
	v_bfe_u32 v13, v4, 23, 8
	v_and_b32_e32 v3, 0x7fffff, v4
	s_delay_alu instid0(VALU_DEP_2) | instskip(SKIP_2) | instid1(VALU_DEP_3)
	v_sub_nc_u32_e64 v1, 0x78, v13 clamp
	v_cmp_eq_u32_e32 vcc_lo, 0, v13
	v_add_nc_u32_e32 v13, 0xffffff89, v13
	v_cndmask_b32_e64 v14, v1, 0x77, vcc_lo
	v_or_b32_e32 v1, 0x800000, v3
	s_delay_alu instid0(VALU_DEP_1) | instskip(SKIP_1) | instid1(VALU_DEP_2)
	v_dual_cndmask_b32 v1, v1, v3 :: v_dual_add_nc_u32 v4, 20, v14
	v_add_nc_u32_e32 v9, 19, v14
	v_lshlrev_b64 v[3:4], v4, -1
	s_delay_alu instid0(VALU_DEP_3) | instskip(NEXT) | instid1(VALU_DEP_3)
	v_lshrrev_b64 v[11:12], v14, v[1:2]
	v_lshlrev_b64 v[9:10], v9, 1
	v_mov_b32_e32 v4, v2
	s_delay_alu instid0(VALU_DEP_4) | instskip(NEXT) | instid1(VALU_DEP_1)
	v_not_b32_e32 v3, v3
	v_and_b32_e32 v3, v1, v3
	v_and_b32_e32 v1, 0x100000, v11
	s_delay_alu instid0(VALU_DEP_2) | instskip(NEXT) | instid1(VALU_DEP_2)
	v_cmp_eq_u64_e64 s0, v[3:4], v[9:10]
	v_cmp_eq_u64_e64 s1, 0, v[1:2]
	v_cndmask_b32_e64 v1, v13, 0xffffff8a, vcc_lo
	v_lshrrev_b32_e32 v3, 23, v11
	s_delay_alu instid0(VALU_DEP_3) | instskip(NEXT) | instid1(VALU_DEP_1)
	s_and_b32 vcc_lo, s1, s0
	v_add3_u32 v9, v1, v14, v3
	v_subrev_co_ci_u32_e32 v4, vcc_lo, 0, v11, vcc_lo
	s_mov_b32 s0, exec_lo
	s_delay_alu instid0(VALU_DEP_2) | instskip(NEXT) | instid1(VALU_DEP_2)
	v_add_nc_u32_e32 v10, -1, v9
	v_and_b32_e32 v1, 0xfffff, v4
	s_delay_alu instid0(VALU_DEP_1) | instskip(SKIP_1) | instid1(VALU_DEP_4)
	v_add_co_u32 v3, vcc_lo, v1, v11
	v_add_co_ci_u32_e32 v4, vcc_lo, 0, v12, vcc_lo
                                        ; implicit-def: $vgpr1
	v_cmpx_ne_u32_e32 0, v10
	s_xor_b32 s0, exec_lo, s0
; %bb.22:                               ;   in Loop: Header=BB3_18 Depth=1
	s_delay_alu instid0(VALU_DEP_3) | instskip(SKIP_1) | instid1(VALU_DEP_2)
	v_and_b32_e32 v1, 0x1000000, v3
	v_bfe_u32 v11, v3, 24, 1
	v_cmp_eq_u64_e32 vcc_lo, 0, v[1:2]
	s_delay_alu instid0(VALU_DEP_2)
	v_lshrrev_b64 v[3:4], v11, v[3:4]
	v_cndmask_b32_e32 v1, v9, v10, vcc_lo
; %bb.23:                               ;   in Loop: Header=BB3_18 Depth=1
	s_and_not1_saveexec_b32 s0, s0
	s_cbranch_execz .LBB3_14
; %bb.24:                               ;   in Loop: Header=BB3_18 Depth=1
	s_delay_alu instid0(VALU_DEP_2)
	v_bfe_u32 v1, v3, 23, 1
	s_branch .LBB3_14
.LBB3_25:
	s_nop 0
	s_sendmsg sendmsg(MSG_DEALLOC_VGPRS)
	s_endpgm
	.section	.rodata,"a",@progbits
	.p2align	6, 0x0
	.amdhsa_kernel _ZN4vllm32rms_norm_static_fp8_quant_kernelIN3c104HalfENS1_15Float8_e4m3fnuzEEEvPT0_PKT_iS8_PKffii
		.amdhsa_group_segment_fixed_size 132
		.amdhsa_private_segment_fixed_size 0
		.amdhsa_kernarg_size 312
		.amdhsa_user_sgpr_count 15
		.amdhsa_user_sgpr_dispatch_ptr 0
		.amdhsa_user_sgpr_queue_ptr 0
		.amdhsa_user_sgpr_kernarg_segment_ptr 1
		.amdhsa_user_sgpr_dispatch_id 0
		.amdhsa_user_sgpr_private_segment_size 0
		.amdhsa_wavefront_size32 1
		.amdhsa_uses_dynamic_stack 0
		.amdhsa_enable_private_segment 0
		.amdhsa_system_sgpr_workgroup_id_x 1
		.amdhsa_system_sgpr_workgroup_id_y 0
		.amdhsa_system_sgpr_workgroup_id_z 0
		.amdhsa_system_sgpr_workgroup_info 0
		.amdhsa_system_vgpr_workitem_id 0
		.amdhsa_next_free_vgpr 16
		.amdhsa_next_free_sgpr 17
		.amdhsa_reserve_vcc 1
		.amdhsa_float_round_mode_32 0
		.amdhsa_float_round_mode_16_64 0
		.amdhsa_float_denorm_mode_32 3
		.amdhsa_float_denorm_mode_16_64 3
		.amdhsa_dx10_clamp 1
		.amdhsa_ieee_mode 1
		.amdhsa_fp16_overflow 0
		.amdhsa_workgroup_processor_mode 1
		.amdhsa_memory_ordered 1
		.amdhsa_forward_progress 0
		.amdhsa_shared_vgpr_count 0
		.amdhsa_exception_fp_ieee_invalid_op 0
		.amdhsa_exception_fp_denorm_src 0
		.amdhsa_exception_fp_ieee_div_zero 0
		.amdhsa_exception_fp_ieee_overflow 0
		.amdhsa_exception_fp_ieee_underflow 0
		.amdhsa_exception_fp_ieee_inexact 0
		.amdhsa_exception_int_div_zero 0
	.end_amdhsa_kernel
	.section	.text._ZN4vllm32rms_norm_static_fp8_quant_kernelIN3c104HalfENS1_15Float8_e4m3fnuzEEEvPT0_PKT_iS8_PKffii,"axG",@progbits,_ZN4vllm32rms_norm_static_fp8_quant_kernelIN3c104HalfENS1_15Float8_e4m3fnuzEEEvPT0_PKT_iS8_PKffii,comdat
.Lfunc_end3:
	.size	_ZN4vllm32rms_norm_static_fp8_quant_kernelIN3c104HalfENS1_15Float8_e4m3fnuzEEEvPT0_PKT_iS8_PKffii, .Lfunc_end3-_ZN4vllm32rms_norm_static_fp8_quant_kernelIN3c104HalfENS1_15Float8_e4m3fnuzEEEvPT0_PKT_iS8_PKffii
                                        ; -- End function
	.section	.AMDGPU.csdata,"",@progbits
; Kernel info:
; codeLenInByte = 1828
; NumSgprs: 19
; NumVgprs: 16
; ScratchSize: 0
; MemoryBound: 0
; FloatMode: 240
; IeeeMode: 1
; LDSByteSize: 132 bytes/workgroup (compile time only)
; SGPRBlocks: 2
; VGPRBlocks: 1
; NumSGPRsForWavesPerEU: 19
; NumVGPRsForWavesPerEU: 16
; Occupancy: 16
; WaveLimiterHint : 0
; COMPUTE_PGM_RSRC2:SCRATCH_EN: 0
; COMPUTE_PGM_RSRC2:USER_SGPR: 15
; COMPUTE_PGM_RSRC2:TRAP_HANDLER: 0
; COMPUTE_PGM_RSRC2:TGID_X_EN: 1
; COMPUTE_PGM_RSRC2:TGID_Y_EN: 0
; COMPUTE_PGM_RSRC2:TGID_Z_EN: 0
; COMPUTE_PGM_RSRC2:TIDIG_COMP_CNT: 0
	.section	.text._ZN4vllm32rms_norm_static_fp8_quant_kernelIN3c108BFloat16ENS1_13Float8_e4m3fnEEEvPT0_PKT_iS8_PKffii,"axG",@progbits,_ZN4vllm32rms_norm_static_fp8_quant_kernelIN3c108BFloat16ENS1_13Float8_e4m3fnEEEvPT0_PKT_iS8_PKffii,comdat
	.protected	_ZN4vllm32rms_norm_static_fp8_quant_kernelIN3c108BFloat16ENS1_13Float8_e4m3fnEEEvPT0_PKT_iS8_PKffii ; -- Begin function _ZN4vllm32rms_norm_static_fp8_quant_kernelIN3c108BFloat16ENS1_13Float8_e4m3fnEEEvPT0_PKT_iS8_PKffii
	.globl	_ZN4vllm32rms_norm_static_fp8_quant_kernelIN3c108BFloat16ENS1_13Float8_e4m3fnEEEvPT0_PKT_iS8_PKffii
	.p2align	8
	.type	_ZN4vllm32rms_norm_static_fp8_quant_kernelIN3c108BFloat16ENS1_13Float8_e4m3fnEEEvPT0_PKT_iS8_PKffii,@function
_ZN4vllm32rms_norm_static_fp8_quant_kernelIN3c108BFloat16ENS1_13Float8_e4m3fnEEEvPT0_PKT_iS8_PKffii: ; @_ZN4vllm32rms_norm_static_fp8_quant_kernelIN3c108BFloat16ENS1_13Float8_e4m3fnEEEvPT0_PKT_iS8_PKffii
; %bb.0:
	s_clause 0x2
	s_load_b32 s3, s[0:1], 0x30
	s_load_b64 s[8:9], s[0:1], 0x8
	s_load_b32 s12, s[0:1], 0x10
	s_mov_b32 s4, exec_lo
                                        ; implicit-def: $sgpr16
                                        ; implicit-def: $sgpr14
	s_waitcnt lgkmcnt(0)
	v_cmp_gt_i32_e64 s2, s3, v0
	v_cmpx_le_i32_e64 s3, v0
	s_xor_b32 s4, exec_lo, s4
	s_cbranch_execz .LBB4_2
; %bb.1:
	s_load_b32 s5, s[0:1], 0x44
	s_mov_b32 s16, 0
	s_waitcnt lgkmcnt(0)
	s_and_b32 s14, s5, 0xffff
.LBB4_2:
	s_or_saveexec_b32 s13, s4
	s_clause 0x1
	s_load_b64 s[10:11], s[0:1], 0x0
	s_load_b128 s[4:7], s[0:1], 0x18
	v_dual_mov_b32 v6, s16 :: v_dual_mov_b32 v5, s14
	s_mul_i32 s12, s15, s12
	s_xor_b32 exec_lo, exec_lo, s13
	s_cbranch_execz .LBB4_6
; %bb.3:
	s_load_b32 s14, s[0:1], 0x44
	v_dual_mov_b32 v2, 0 :: v_dual_mov_b32 v3, v0
	v_mov_b32_e32 v6, 0
	s_mov_b32 s16, 0
	s_waitcnt lgkmcnt(0)
	s_and_b32 s14, s14, 0xffff
.LBB4_4:                                ; =>This Inner Loop Header: Depth=1
	v_add_nc_u32_e32 v1, s12, v3
	s_delay_alu instid0(VALU_DEP_1) | instskip(NEXT) | instid1(VALU_DEP_1)
	v_lshlrev_b64 v[4:5], 1, v[1:2]
	v_add_co_u32 v4, vcc_lo, s8, v4
	s_delay_alu instid0(VALU_DEP_2) | instskip(SKIP_3) | instid1(VALU_DEP_1)
	v_add_co_ci_u32_e32 v5, vcc_lo, s9, v5, vcc_lo
	global_load_u16 v1, v[4:5], off
	s_waitcnt vmcnt(0)
	v_lshlrev_b32_e32 v1, 16, v1
	v_dual_fmac_f32 v6, v1, v1 :: v_dual_add_nc_u32 v3, s14, v3
	s_delay_alu instid0(VALU_DEP_1) | instskip(SKIP_1) | instid1(SALU_CYCLE_1)
	v_cmp_le_i32_e32 vcc_lo, s3, v3
	s_or_b32 s16, vcc_lo, s16
	s_and_not1_b32 exec_lo, exec_lo, s16
	s_cbranch_execnz .LBB4_4
; %bb.5:
	s_or_b32 exec_lo, exec_lo, s16
	v_mov_b32_e32 v5, s14
.LBB4_6:
	s_or_b32 exec_lo, exec_lo, s13
	v_mbcnt_lo_u32_b32 v1, -1, 0
	v_and_b32_e32 v3, 0x3e0, v0
	s_mov_b32 s13, exec_lo
	s_delay_alu instid0(VALU_DEP_2) | instskip(NEXT) | instid1(VALU_DEP_2)
	v_cmp_ne_u32_e32 vcc_lo, 31, v1
	v_sub_nc_u32_e64 v13, v5, v3 clamp
	v_add_co_ci_u32_e32 v2, vcc_lo, 0, v1, vcc_lo
	v_cmp_gt_u32_e32 vcc_lo, 30, v1
	s_delay_alu instid0(VALU_DEP_2)
	v_lshlrev_b32_e32 v2, 2, v2
	v_cndmask_b32_e64 v7, 0, 1, vcc_lo
	ds_bpermute_b32 v4, v2, v6
	s_waitcnt lgkmcnt(0)
	v_dual_add_f32 v8, v6, v4 :: v_dual_lshlrev_b32 v7, 1, v7
	v_add_nc_u32_e32 v3, 1, v1
	s_delay_alu instid0(VALU_DEP_2) | instskip(NEXT) | instid1(VALU_DEP_2)
	v_add_lshl_u32 v4, v7, v1, 2
	v_cmp_lt_u32_e32 vcc_lo, v3, v13
	s_delay_alu instid0(VALU_DEP_4) | instskip(SKIP_3) | instid1(VALU_DEP_1)
	v_cndmask_b32_e32 v8, v6, v8, vcc_lo
	v_cmp_gt_u32_e32 vcc_lo, 28, v1
	ds_bpermute_b32 v7, v4, v8
	v_cndmask_b32_e64 v6, 0, 1, vcc_lo
	v_lshlrev_b32_e32 v9, 2, v6
	v_add_nc_u32_e32 v6, 2, v1
	s_delay_alu instid0(VALU_DEP_1) | instskip(SKIP_3) | instid1(VALU_DEP_2)
	v_cmp_lt_u32_e32 vcc_lo, v6, v13
	s_waitcnt lgkmcnt(0)
	v_add_f32_e32 v10, v8, v7
	v_add_lshl_u32 v7, v9, v1, 2
	v_cndmask_b32_e32 v10, v8, v10, vcc_lo
	v_cmp_gt_u32_e32 vcc_lo, 24, v1
	v_cndmask_b32_e64 v8, 0, 1, vcc_lo
	s_delay_alu instid0(VALU_DEP_1) | instskip(SKIP_2) | instid1(VALU_DEP_1)
	v_lshlrev_b32_e32 v11, 3, v8
	ds_bpermute_b32 v9, v7, v10
	v_add_nc_u32_e32 v8, 4, v1
	v_cmp_lt_u32_e32 vcc_lo, v8, v13
	s_waitcnt lgkmcnt(0)
	v_add_f32_e32 v12, v10, v9
	v_add_lshl_u32 v9, v11, v1, 2
	s_delay_alu instid0(VALU_DEP_2) | instskip(SKIP_3) | instid1(VALU_DEP_1)
	v_cndmask_b32_e32 v12, v10, v12, vcc_lo
	v_cmp_gt_u32_e32 vcc_lo, 16, v1
	ds_bpermute_b32 v11, v9, v12
	v_cndmask_b32_e64 v10, 0, 1, vcc_lo
	v_lshlrev_b32_e32 v14, 4, v10
	v_add_nc_u32_e32 v10, 8, v1
	s_delay_alu instid0(VALU_DEP_1) | instskip(SKIP_3) | instid1(VALU_DEP_2)
	v_cmp_lt_u32_e32 vcc_lo, v10, v13
	s_waitcnt lgkmcnt(0)
	v_add_f32_e32 v15, v12, v11
	v_add_lshl_u32 v11, v14, v1, 2
	v_cndmask_b32_e32 v14, v12, v15, vcc_lo
	v_add_nc_u32_e32 v12, 16, v1
	ds_bpermute_b32 v15, v11, v14
	v_cmp_lt_u32_e32 vcc_lo, v12, v13
	s_waitcnt lgkmcnt(0)
	v_add_f32_e32 v15, v14, v15
	s_delay_alu instid0(VALU_DEP_1)
	v_cndmask_b32_e32 v13, v14, v15, vcc_lo
	v_cmpx_eq_u32_e32 0, v1
	s_cbranch_execz .LBB4_8
; %bb.7:
	v_lshrrev_b32_e32 v14, 3, v0
	s_delay_alu instid0(VALU_DEP_1)
	v_and_b32_e32 v14, 0x7c, v14
	ds_store_b32 v14, v13
.LBB4_8:
	s_or_b32 exec_lo, exec_lo, s13
	s_delay_alu instid0(SALU_CYCLE_1)
	s_mov_b32 s13, exec_lo
	s_waitcnt lgkmcnt(0)
	s_barrier
	buffer_gl0_inv
	v_cmpx_gt_u32_e32 32, v0
	s_cbranch_execz .LBB4_10
; %bb.9:
	v_lshlrev_b32_e32 v1, 2, v1
	ds_load_b32 v1, v1
	s_waitcnt lgkmcnt(0)
	ds_bpermute_b32 v2, v2, v1
	s_waitcnt lgkmcnt(0)
	v_dual_add_f32 v2, v1, v2 :: v_dual_add_nc_u32 v13, 31, v5
	s_delay_alu instid0(VALU_DEP_1) | instskip(NEXT) | instid1(VALU_DEP_1)
	v_lshrrev_b32_e32 v13, 5, v13
	v_cmp_lt_u32_e32 vcc_lo, v3, v13
	s_delay_alu instid0(VALU_DEP_3) | instskip(SKIP_4) | instid1(VALU_DEP_1)
	v_cndmask_b32_e32 v1, v1, v2, vcc_lo
	v_cmp_lt_u32_e32 vcc_lo, v6, v13
	ds_bpermute_b32 v2, v4, v1
	s_waitcnt lgkmcnt(0)
	v_add_f32_e32 v2, v1, v2
	v_cndmask_b32_e32 v1, v1, v2, vcc_lo
	v_cmp_lt_u32_e32 vcc_lo, v8, v13
	ds_bpermute_b32 v2, v7, v1
	s_waitcnt lgkmcnt(0)
	v_add_f32_e32 v2, v1, v2
	s_delay_alu instid0(VALU_DEP_1) | instskip(SKIP_4) | instid1(VALU_DEP_1)
	v_cndmask_b32_e32 v1, v1, v2, vcc_lo
	v_cmp_lt_u32_e32 vcc_lo, v10, v13
	ds_bpermute_b32 v2, v9, v1
	s_waitcnt lgkmcnt(0)
	v_add_f32_e32 v2, v1, v2
	v_cndmask_b32_e32 v1, v1, v2, vcc_lo
	v_cmp_lt_u32_e32 vcc_lo, v12, v13
	ds_bpermute_b32 v2, v11, v1
	s_waitcnt lgkmcnt(0)
	v_add_f32_e32 v2, v1, v2
	s_delay_alu instid0(VALU_DEP_1)
	v_cndmask_b32_e32 v13, v1, v2, vcc_lo
.LBB4_10:
	s_or_b32 exec_lo, exec_lo, s13
	s_delay_alu instid0(SALU_CYCLE_1)
	s_mov_b32 s13, exec_lo
	v_cmpx_eq_u32_e32 0, v0
	s_cbranch_execz .LBB4_12
; %bb.11:
	v_cvt_f32_i32_e32 v1, s3
	s_load_b32 s0, s[0:1], 0x28
	s_delay_alu instid0(VALU_DEP_1) | instskip(SKIP_1) | instid1(VALU_DEP_2)
	v_div_scale_f32 v2, null, v1, v1, v13
	v_div_scale_f32 v6, vcc_lo, v13, v1, v13
	v_rcp_f32_e32 v3, v2
	s_waitcnt_depctr 0xfff
	v_fma_f32 v4, -v2, v3, 1.0
	s_delay_alu instid0(VALU_DEP_1) | instskip(NEXT) | instid1(VALU_DEP_1)
	v_fmac_f32_e32 v3, v4, v3
	v_mul_f32_e32 v4, v6, v3
	s_delay_alu instid0(VALU_DEP_1) | instskip(NEXT) | instid1(VALU_DEP_1)
	v_fma_f32 v7, -v2, v4, v6
	v_fmac_f32_e32 v4, v7, v3
	s_delay_alu instid0(VALU_DEP_1) | instskip(NEXT) | instid1(VALU_DEP_1)
	v_fma_f32 v2, -v2, v4, v6
	v_div_fmas_f32 v2, v2, v3, v4
	s_delay_alu instid0(VALU_DEP_1) | instskip(SKIP_1) | instid1(VALU_DEP_1)
	v_div_fixup_f32 v1, v2, v1, v13
	s_waitcnt lgkmcnt(0)
	v_add_f32_e32 v1, s0, v1
	s_delay_alu instid0(VALU_DEP_1) | instskip(SKIP_1) | instid1(VALU_DEP_2)
	v_mul_f32_e32 v2, 0x4b800000, v1
	v_cmp_gt_f32_e32 vcc_lo, 0x800000, v1
	v_cndmask_b32_e32 v1, v1, v2, vcc_lo
	s_delay_alu instid0(VALU_DEP_1) | instskip(SKIP_2) | instid1(VALU_DEP_1)
	v_rsq_f32_e32 v1, v1
	s_waitcnt_depctr 0xfff
	v_mul_f32_e32 v2, 0x45800000, v1
	v_dual_cndmask_b32 v1, v1, v2 :: v_dual_mov_b32 v2, 0
	ds_store_b32 v2, v1 offset:128
.LBB4_12:
	s_or_b32 exec_lo, exec_lo, s13
	s_waitcnt lgkmcnt(0)
	s_barrier
	buffer_gl0_inv
	s_and_saveexec_b32 s0, s2
	s_cbranch_execz .LBB4_31
; %bb.13:
	s_load_b32 s0, s[6:7], 0x0
	s_mul_i32 s15, s15, s3
	s_mov_b32 s2, 0
	s_mov_b32 s6, 0x43e00000
	s_waitcnt lgkmcnt(0)
	v_div_scale_f32 v1, null, s0, s0, 1.0
	v_div_scale_f32 v4, vcc_lo, 1.0, s0, 1.0
	s_delay_alu instid0(VALU_DEP_2) | instskip(SKIP_2) | instid1(VALU_DEP_1)
	v_rcp_f32_e32 v3, v1
	s_waitcnt_depctr 0xfff
	v_fma_f32 v2, -v1, v3, 1.0
	v_dual_fmac_f32 v3, v2, v3 :: v_dual_mov_b32 v2, 0
	s_delay_alu instid0(VALU_DEP_1) | instskip(NEXT) | instid1(VALU_DEP_1)
	v_mul_f32_e32 v7, v4, v3
	v_fma_f32 v6, -v1, v7, v4
	s_delay_alu instid0(VALU_DEP_1) | instskip(SKIP_2) | instid1(VALU_DEP_1)
	v_fmac_f32_e32 v7, v6, v3
	ds_load_b32 v6, v2 offset:128
	v_fma_f32 v1, -v1, v7, v4
	v_div_fmas_f32 v1, v1, v3, v7
	s_delay_alu instid0(VALU_DEP_1)
	v_div_fixup_f32 v7, v1, s0, 1.0
	s_branch .LBB4_15
.LBB4_14:                               ;   in Loop: Header=BB4_15 Depth=1
	s_or_b32 exec_lo, exec_lo, s0
	v_add_nc_u32_e32 v1, s15, v0
	v_add_nc_u32_e32 v0, v0, v5
	global_store_b8 v1, v4, s[10:11]
	v_cmp_le_i32_e32 vcc_lo, s3, v0
	s_or_b32 s2, vcc_lo, s2
	s_delay_alu instid0(SALU_CYCLE_1)
	s_and_not1_b32 exec_lo, exec_lo, s2
	s_cbranch_execz .LBB4_31
.LBB4_15:                               ; =>This Inner Loop Header: Depth=1
	v_add_nc_u32_e32 v1, s12, v0
	s_mov_b32 s0, exec_lo
	s_delay_alu instid0(VALU_DEP_1) | instskip(SKIP_1) | instid1(VALU_DEP_2)
	v_lshlrev_b64 v[3:4], 1, v[1:2]
	v_ashrrev_i32_e32 v1, 31, v0
	v_add_co_u32 v3, vcc_lo, s8, v3
	s_delay_alu instid0(VALU_DEP_3) | instskip(SKIP_2) | instid1(VALU_DEP_1)
	v_add_co_ci_u32_e32 v4, vcc_lo, s9, v4, vcc_lo
	global_load_u16 v8, v[3:4], off
	v_lshlrev_b64 v[3:4], 1, v[0:1]
	v_add_co_u32 v3, vcc_lo, s4, v3
	s_delay_alu instid0(VALU_DEP_2) | instskip(SKIP_4) | instid1(VALU_DEP_1)
	v_add_co_ci_u32_e32 v4, vcc_lo, s5, v4, vcc_lo
	global_load_u16 v1, v[3:4], off
	s_waitcnt vmcnt(1)
	v_lshlrev_b32_e32 v3, 16, v8
	s_waitcnt lgkmcnt(0)
	v_mul_f32_e32 v3, v6, v3
	s_delay_alu instid0(VALU_DEP_1) | instskip(SKIP_2) | instid1(VALU_DEP_2)
	v_bfe_u32 v4, v3, 16, 1
	s_waitcnt vmcnt(0)
	v_lshlrev_b32_e32 v1, 16, v1
	v_add3_u32 v4, v3, v4, 0x7fff
	s_delay_alu instid0(VALU_DEP_1) | instskip(SKIP_1) | instid1(VALU_DEP_2)
	v_and_b32_e32 v4, 0xffff0000, v4
	v_cmp_o_f32_e32 vcc_lo, v3, v3
	v_cndmask_b32_e32 v3, 0x7fc00000, v4, vcc_lo
	s_delay_alu instid0(VALU_DEP_1) | instskip(NEXT) | instid1(VALU_DEP_1)
	v_mul_f32_e32 v1, v3, v1
	v_bfe_u32 v3, v1, 16, 1
	v_cmp_o_f32_e32 vcc_lo, v1, v1
	s_delay_alu instid0(VALU_DEP_2) | instskip(NEXT) | instid1(VALU_DEP_1)
	v_add3_u32 v3, v1, v3, 0x7fff
	v_and_b32_e32 v3, 0xffff0000, v3
	s_delay_alu instid0(VALU_DEP_1) | instskip(NEXT) | instid1(VALU_DEP_1)
	v_cndmask_b32_e32 v1, 0x7fc00000, v3, vcc_lo
	v_mul_f32_e32 v1, v7, v1
	s_delay_alu instid0(VALU_DEP_1) | instskip(NEXT) | instid1(VALU_DEP_1)
	v_minmax_f32 v3, v1, s6, 0xc3e00000
	v_and_b32_e32 v10, 0x7f800000, v3
	v_lshrrev_b32_e32 v9, 24, v3
	v_mov_b32_e32 v11, v2
	v_and_b32_e32 v1, 0x7fffff, v3
	s_delay_alu instid0(VALU_DEP_3) | instskip(NEXT) | instid1(VALU_DEP_1)
	v_and_b32_e32 v8, 0x80, v9
	v_or_b32_e32 v4, 0x7e, v8
	s_delay_alu instid0(VALU_DEP_4)
	v_cmpx_ne_u64_e32 0x7f800000, v[10:11]
	s_xor_b32 s7, exec_lo, s0
	s_cbranch_execz .LBB4_29
; %bb.16:                               ;   in Loop: Header=BB4_15 Depth=1
	v_dual_mov_b32 v10, v2 :: v_dual_and_b32 v9, 0x7fffffff, v3
	s_mov_b32 s0, exec_lo
	s_delay_alu instid0(VALU_DEP_1)
	v_cmpx_gt_u64_e32 0x43e00001, v[9:10]
	s_xor_b32 s13, exec_lo, s0
	s_cbranch_execz .LBB4_28
; %bb.17:                               ;   in Loop: Header=BB4_15 Depth=1
	v_mov_b32_e32 v4, 0
	s_mov_b32 s14, exec_lo
	v_cmpx_ne_u32_e32 0, v3
	s_cbranch_execz .LBB4_27
; %bb.18:                               ;   in Loop: Header=BB4_15 Depth=1
	v_bfe_u32 v13, v3, 23, 8
	s_delay_alu instid0(VALU_DEP_1) | instskip(SKIP_2) | instid1(VALU_DEP_3)
	v_sub_nc_u32_e64 v3, 0x79, v13 clamp
	v_cmp_eq_u32_e32 vcc_lo, 0, v13
	v_add_nc_u32_e32 v13, 0xffffff88, v13
	v_cndmask_b32_e64 v14, v3, 0x78, vcc_lo
	v_or_b32_e32 v3, 0x800000, v1
	s_delay_alu instid0(VALU_DEP_1) | instskip(SKIP_1) | instid1(VALU_DEP_2)
	v_dual_cndmask_b32 v1, v3, v1 :: v_dual_add_nc_u32 v4, 20, v14
	v_add_nc_u32_e32 v9, 19, v14
	v_lshlrev_b64 v[3:4], v4, -1
	s_delay_alu instid0(VALU_DEP_3) | instskip(NEXT) | instid1(VALU_DEP_2)
	v_lshrrev_b64 v[11:12], v14, v[1:2]
	v_not_b32_e32 v10, v4
	s_delay_alu instid0(VALU_DEP_3) | instskip(SKIP_1) | instid1(VALU_DEP_3)
	v_not_b32_e32 v15, v3
	v_lshlrev_b64 v[3:4], v9, 1
	v_and_b32_e32 v10, 0, v10
	s_delay_alu instid0(VALU_DEP_3) | instskip(SKIP_1) | instid1(VALU_DEP_2)
	v_and_b32_e32 v9, v1, v15
	v_and_b32_e32 v1, 0x100000, v11
	v_cmp_eq_u64_e64 s0, v[9:10], v[3:4]
	s_delay_alu instid0(VALU_DEP_2) | instskip(SKIP_2) | instid1(VALU_DEP_3)
	v_cmp_eq_u64_e64 s1, 0, v[1:2]
	v_cndmask_b32_e64 v1, v13, 0xffffff89, vcc_lo
	v_lshrrev_b32_e32 v3, 23, v11
	s_and_b32 vcc_lo, s1, s0
	s_delay_alu instid0(VALU_DEP_1) | instskip(SKIP_2) | instid1(VALU_DEP_2)
	v_add3_u32 v9, v1, v14, v3
	v_subrev_co_ci_u32_e32 v4, vcc_lo, 0, v11, vcc_lo
	s_mov_b32 s0, exec_lo
	v_add_nc_u32_e32 v10, -1, v9
	s_delay_alu instid0(VALU_DEP_2) | instskip(NEXT) | instid1(VALU_DEP_1)
	v_and_b32_e32 v1, 0xfffff, v4
	v_add_co_u32 v3, vcc_lo, v1, v11
	v_add_co_ci_u32_e32 v4, vcc_lo, 0, v12, vcc_lo
                                        ; implicit-def: $vgpr1
	s_delay_alu instid0(VALU_DEP_4)
	v_cmpx_ne_u32_e32 0, v10
	s_xor_b32 s0, exec_lo, s0
; %bb.19:                               ;   in Loop: Header=BB4_15 Depth=1
	s_delay_alu instid0(VALU_DEP_3) | instskip(SKIP_1) | instid1(VALU_DEP_2)
	v_and_b32_e32 v1, 0x1000000, v3
	v_bfe_u32 v11, v3, 24, 1
	v_cmp_eq_u64_e32 vcc_lo, 0, v[1:2]
	s_delay_alu instid0(VALU_DEP_2)
	v_lshrrev_b64 v[3:4], v11, v[3:4]
	v_cndmask_b32_e32 v1, v9, v10, vcc_lo
; %bb.20:                               ;   in Loop: Header=BB4_15 Depth=1
	s_and_not1_saveexec_b32 s0, s0
; %bb.21:                               ;   in Loop: Header=BB4_15 Depth=1
	s_delay_alu instid0(VALU_DEP_2)
	v_bfe_u32 v1, v3, 23, 1
; %bb.22:                               ;   in Loop: Header=BB4_15 Depth=1
	s_or_b32 exec_lo, exec_lo, s0
	s_delay_alu instid0(VALU_DEP_3) | instskip(NEXT) | instid1(VALU_DEP_2)
	v_lshrrev_b64 v[3:4], 20, v[3:4]
	v_cmp_gt_i32_e32 vcc_lo, 16, v1
	v_cmp_ne_u32_e64 s0, 0, v1
	s_delay_alu instid0(VALU_DEP_3) | instskip(NEXT) | instid1(VALU_DEP_1)
	v_dual_cndmask_b32 v4, 0, v4 :: v_dual_cndmask_b32 v3, 7, v3
	v_cmp_ne_u64_e32 vcc_lo, 0, v[3:4]
                                        ; implicit-def: $vgpr4
	s_delay_alu instid0(VALU_DEP_3) | instskip(NEXT) | instid1(SALU_CYCLE_1)
	s_or_b32 s0, s0, vcc_lo
	s_and_saveexec_b32 s1, s0
	s_delay_alu instid0(SALU_CYCLE_1)
	s_xor_b32 s0, exec_lo, s1
; %bb.23:                               ;   in Loop: Header=BB4_15 Depth=1
	v_min_i32_e32 v1, 15, v1
	s_delay_alu instid0(VALU_DEP_1) | instskip(NEXT) | instid1(VALU_DEP_1)
	v_lshl_or_b32 v1, v1, 3, v8
                                        ; implicit-def: $vgpr8
	v_and_or_b32 v4, v3, 7, v1
; %bb.24:                               ;   in Loop: Header=BB4_15 Depth=1
	s_and_not1_saveexec_b32 s0, s0
; %bb.25:                               ;   in Loop: Header=BB4_15 Depth=1
	v_mov_b32_e32 v4, v8
; %bb.26:                               ;   in Loop: Header=BB4_15 Depth=1
	s_or_b32 exec_lo, exec_lo, s0
.LBB4_27:                               ;   in Loop: Header=BB4_15 Depth=1
	s_delay_alu instid0(SALU_CYCLE_1)
	s_or_b32 exec_lo, exec_lo, s14
.LBB4_28:                               ;   in Loop: Header=BB4_15 Depth=1
	s_and_not1_saveexec_b32 s0, s13
	s_delay_alu instid0(SALU_CYCLE_1)
	s_or_b32 exec_lo, exec_lo, s0
                                        ; implicit-def: $vgpr9
.LBB4_29:                               ;   in Loop: Header=BB4_15 Depth=1
	s_and_not1_saveexec_b32 s0, s7
	s_cbranch_execz .LBB4_14
; %bb.30:                               ;   in Loop: Header=BB4_15 Depth=1
	v_cmp_eq_u64_e32 vcc_lo, 0, v[1:2]
	v_or_b32_e32 v3, 0x7f, v9
	s_delay_alu instid0(VALU_DEP_1)
	v_cndmask_b32_e32 v4, v3, v4, vcc_lo
	s_branch .LBB4_14
.LBB4_31:
	s_nop 0
	s_sendmsg sendmsg(MSG_DEALLOC_VGPRS)
	s_endpgm
	.section	.rodata,"a",@progbits
	.p2align	6, 0x0
	.amdhsa_kernel _ZN4vllm32rms_norm_static_fp8_quant_kernelIN3c108BFloat16ENS1_13Float8_e4m3fnEEEvPT0_PKT_iS8_PKffii
		.amdhsa_group_segment_fixed_size 132
		.amdhsa_private_segment_fixed_size 0
		.amdhsa_kernarg_size 312
		.amdhsa_user_sgpr_count 15
		.amdhsa_user_sgpr_dispatch_ptr 0
		.amdhsa_user_sgpr_queue_ptr 0
		.amdhsa_user_sgpr_kernarg_segment_ptr 1
		.amdhsa_user_sgpr_dispatch_id 0
		.amdhsa_user_sgpr_private_segment_size 0
		.amdhsa_wavefront_size32 1
		.amdhsa_uses_dynamic_stack 0
		.amdhsa_enable_private_segment 0
		.amdhsa_system_sgpr_workgroup_id_x 1
		.amdhsa_system_sgpr_workgroup_id_y 0
		.amdhsa_system_sgpr_workgroup_id_z 0
		.amdhsa_system_sgpr_workgroup_info 0
		.amdhsa_system_vgpr_workitem_id 0
		.amdhsa_next_free_vgpr 16
		.amdhsa_next_free_sgpr 17
		.amdhsa_reserve_vcc 1
		.amdhsa_float_round_mode_32 0
		.amdhsa_float_round_mode_16_64 0
		.amdhsa_float_denorm_mode_32 3
		.amdhsa_float_denorm_mode_16_64 3
		.amdhsa_dx10_clamp 1
		.amdhsa_ieee_mode 1
		.amdhsa_fp16_overflow 0
		.amdhsa_workgroup_processor_mode 1
		.amdhsa_memory_ordered 1
		.amdhsa_forward_progress 0
		.amdhsa_shared_vgpr_count 0
		.amdhsa_exception_fp_ieee_invalid_op 0
		.amdhsa_exception_fp_denorm_src 0
		.amdhsa_exception_fp_ieee_div_zero 0
		.amdhsa_exception_fp_ieee_overflow 0
		.amdhsa_exception_fp_ieee_underflow 0
		.amdhsa_exception_fp_ieee_inexact 0
		.amdhsa_exception_int_div_zero 0
	.end_amdhsa_kernel
	.section	.text._ZN4vllm32rms_norm_static_fp8_quant_kernelIN3c108BFloat16ENS1_13Float8_e4m3fnEEEvPT0_PKT_iS8_PKffii,"axG",@progbits,_ZN4vllm32rms_norm_static_fp8_quant_kernelIN3c108BFloat16ENS1_13Float8_e4m3fnEEEvPT0_PKT_iS8_PKffii,comdat
.Lfunc_end4:
	.size	_ZN4vllm32rms_norm_static_fp8_quant_kernelIN3c108BFloat16ENS1_13Float8_e4m3fnEEEvPT0_PKT_iS8_PKffii, .Lfunc_end4-_ZN4vllm32rms_norm_static_fp8_quant_kernelIN3c108BFloat16ENS1_13Float8_e4m3fnEEEvPT0_PKT_iS8_PKffii
                                        ; -- End function
	.section	.AMDGPU.csdata,"",@progbits
; Kernel info:
; codeLenInByte = 1988
; NumSgprs: 19
; NumVgprs: 16
; ScratchSize: 0
; MemoryBound: 0
; FloatMode: 240
; IeeeMode: 1
; LDSByteSize: 132 bytes/workgroup (compile time only)
; SGPRBlocks: 2
; VGPRBlocks: 1
; NumSGPRsForWavesPerEU: 19
; NumVGPRsForWavesPerEU: 16
; Occupancy: 16
; WaveLimiterHint : 0
; COMPUTE_PGM_RSRC2:SCRATCH_EN: 0
; COMPUTE_PGM_RSRC2:USER_SGPR: 15
; COMPUTE_PGM_RSRC2:TRAP_HANDLER: 0
; COMPUTE_PGM_RSRC2:TGID_X_EN: 1
; COMPUTE_PGM_RSRC2:TGID_Y_EN: 0
; COMPUTE_PGM_RSRC2:TGID_Z_EN: 0
; COMPUTE_PGM_RSRC2:TIDIG_COMP_CNT: 0
	.section	.text._ZN4vllm32rms_norm_static_fp8_quant_kernelIN3c108BFloat16ENS1_15Float8_e4m3fnuzEEEvPT0_PKT_iS8_PKffii,"axG",@progbits,_ZN4vllm32rms_norm_static_fp8_quant_kernelIN3c108BFloat16ENS1_15Float8_e4m3fnuzEEEvPT0_PKT_iS8_PKffii,comdat
	.protected	_ZN4vllm32rms_norm_static_fp8_quant_kernelIN3c108BFloat16ENS1_15Float8_e4m3fnuzEEEvPT0_PKT_iS8_PKffii ; -- Begin function _ZN4vllm32rms_norm_static_fp8_quant_kernelIN3c108BFloat16ENS1_15Float8_e4m3fnuzEEEvPT0_PKT_iS8_PKffii
	.globl	_ZN4vllm32rms_norm_static_fp8_quant_kernelIN3c108BFloat16ENS1_15Float8_e4m3fnuzEEEvPT0_PKT_iS8_PKffii
	.p2align	8
	.type	_ZN4vllm32rms_norm_static_fp8_quant_kernelIN3c108BFloat16ENS1_15Float8_e4m3fnuzEEEvPT0_PKT_iS8_PKffii,@function
_ZN4vllm32rms_norm_static_fp8_quant_kernelIN3c108BFloat16ENS1_15Float8_e4m3fnuzEEEvPT0_PKT_iS8_PKffii: ; @_ZN4vllm32rms_norm_static_fp8_quant_kernelIN3c108BFloat16ENS1_15Float8_e4m3fnuzEEEvPT0_PKT_iS8_PKffii
; %bb.0:
	s_clause 0x2
	s_load_b32 s3, s[0:1], 0x30
	s_load_b64 s[8:9], s[0:1], 0x8
	s_load_b32 s12, s[0:1], 0x10
	s_mov_b32 s4, exec_lo
                                        ; implicit-def: $sgpr16
                                        ; implicit-def: $sgpr14
	s_waitcnt lgkmcnt(0)
	v_cmp_gt_i32_e64 s2, s3, v0
	v_cmpx_le_i32_e64 s3, v0
	s_xor_b32 s4, exec_lo, s4
	s_cbranch_execz .LBB5_2
; %bb.1:
	s_load_b32 s5, s[0:1], 0x44
	s_mov_b32 s16, 0
	s_waitcnt lgkmcnt(0)
	s_and_b32 s14, s5, 0xffff
.LBB5_2:
	s_or_saveexec_b32 s13, s4
	s_clause 0x1
	s_load_b64 s[10:11], s[0:1], 0x0
	s_load_b128 s[4:7], s[0:1], 0x18
	v_dual_mov_b32 v6, s16 :: v_dual_mov_b32 v5, s14
	s_mul_i32 s12, s15, s12
	s_xor_b32 exec_lo, exec_lo, s13
	s_cbranch_execz .LBB5_6
; %bb.3:
	s_load_b32 s14, s[0:1], 0x44
	v_dual_mov_b32 v2, 0 :: v_dual_mov_b32 v3, v0
	v_mov_b32_e32 v6, 0
	s_mov_b32 s16, 0
	s_waitcnt lgkmcnt(0)
	s_and_b32 s14, s14, 0xffff
.LBB5_4:                                ; =>This Inner Loop Header: Depth=1
	v_add_nc_u32_e32 v1, s12, v3
	s_delay_alu instid0(VALU_DEP_1) | instskip(NEXT) | instid1(VALU_DEP_1)
	v_lshlrev_b64 v[4:5], 1, v[1:2]
	v_add_co_u32 v4, vcc_lo, s8, v4
	s_delay_alu instid0(VALU_DEP_2) | instskip(SKIP_3) | instid1(VALU_DEP_1)
	v_add_co_ci_u32_e32 v5, vcc_lo, s9, v5, vcc_lo
	global_load_u16 v1, v[4:5], off
	s_waitcnt vmcnt(0)
	v_lshlrev_b32_e32 v1, 16, v1
	v_dual_fmac_f32 v6, v1, v1 :: v_dual_add_nc_u32 v3, s14, v3
	s_delay_alu instid0(VALU_DEP_1) | instskip(SKIP_1) | instid1(SALU_CYCLE_1)
	v_cmp_le_i32_e32 vcc_lo, s3, v3
	s_or_b32 s16, vcc_lo, s16
	s_and_not1_b32 exec_lo, exec_lo, s16
	s_cbranch_execnz .LBB5_4
; %bb.5:
	s_or_b32 exec_lo, exec_lo, s16
	v_mov_b32_e32 v5, s14
.LBB5_6:
	s_or_b32 exec_lo, exec_lo, s13
	v_mbcnt_lo_u32_b32 v1, -1, 0
	v_and_b32_e32 v3, 0x3e0, v0
	s_mov_b32 s13, exec_lo
	s_delay_alu instid0(VALU_DEP_2) | instskip(NEXT) | instid1(VALU_DEP_2)
	v_cmp_ne_u32_e32 vcc_lo, 31, v1
	v_sub_nc_u32_e64 v13, v5, v3 clamp
	v_add_co_ci_u32_e32 v2, vcc_lo, 0, v1, vcc_lo
	v_cmp_gt_u32_e32 vcc_lo, 30, v1
	s_delay_alu instid0(VALU_DEP_2)
	v_lshlrev_b32_e32 v2, 2, v2
	v_cndmask_b32_e64 v7, 0, 1, vcc_lo
	ds_bpermute_b32 v4, v2, v6
	s_waitcnt lgkmcnt(0)
	v_dual_add_f32 v8, v6, v4 :: v_dual_lshlrev_b32 v7, 1, v7
	v_add_nc_u32_e32 v3, 1, v1
	s_delay_alu instid0(VALU_DEP_2) | instskip(NEXT) | instid1(VALU_DEP_2)
	v_add_lshl_u32 v4, v7, v1, 2
	v_cmp_lt_u32_e32 vcc_lo, v3, v13
	s_delay_alu instid0(VALU_DEP_4) | instskip(SKIP_3) | instid1(VALU_DEP_1)
	v_cndmask_b32_e32 v8, v6, v8, vcc_lo
	v_cmp_gt_u32_e32 vcc_lo, 28, v1
	ds_bpermute_b32 v7, v4, v8
	v_cndmask_b32_e64 v6, 0, 1, vcc_lo
	v_lshlrev_b32_e32 v9, 2, v6
	v_add_nc_u32_e32 v6, 2, v1
	s_delay_alu instid0(VALU_DEP_1) | instskip(SKIP_3) | instid1(VALU_DEP_2)
	v_cmp_lt_u32_e32 vcc_lo, v6, v13
	s_waitcnt lgkmcnt(0)
	v_add_f32_e32 v10, v8, v7
	v_add_lshl_u32 v7, v9, v1, 2
	v_cndmask_b32_e32 v10, v8, v10, vcc_lo
	v_cmp_gt_u32_e32 vcc_lo, 24, v1
	v_cndmask_b32_e64 v8, 0, 1, vcc_lo
	s_delay_alu instid0(VALU_DEP_1) | instskip(SKIP_2) | instid1(VALU_DEP_1)
	v_lshlrev_b32_e32 v11, 3, v8
	ds_bpermute_b32 v9, v7, v10
	v_add_nc_u32_e32 v8, 4, v1
	v_cmp_lt_u32_e32 vcc_lo, v8, v13
	s_waitcnt lgkmcnt(0)
	v_add_f32_e32 v12, v10, v9
	v_add_lshl_u32 v9, v11, v1, 2
	s_delay_alu instid0(VALU_DEP_2) | instskip(SKIP_3) | instid1(VALU_DEP_1)
	v_cndmask_b32_e32 v12, v10, v12, vcc_lo
	v_cmp_gt_u32_e32 vcc_lo, 16, v1
	ds_bpermute_b32 v11, v9, v12
	v_cndmask_b32_e64 v10, 0, 1, vcc_lo
	v_lshlrev_b32_e32 v14, 4, v10
	v_add_nc_u32_e32 v10, 8, v1
	s_delay_alu instid0(VALU_DEP_1) | instskip(SKIP_3) | instid1(VALU_DEP_2)
	v_cmp_lt_u32_e32 vcc_lo, v10, v13
	s_waitcnt lgkmcnt(0)
	v_add_f32_e32 v15, v12, v11
	v_add_lshl_u32 v11, v14, v1, 2
	v_cndmask_b32_e32 v14, v12, v15, vcc_lo
	v_add_nc_u32_e32 v12, 16, v1
	ds_bpermute_b32 v15, v11, v14
	v_cmp_lt_u32_e32 vcc_lo, v12, v13
	s_waitcnt lgkmcnt(0)
	v_add_f32_e32 v15, v14, v15
	s_delay_alu instid0(VALU_DEP_1)
	v_cndmask_b32_e32 v13, v14, v15, vcc_lo
	v_cmpx_eq_u32_e32 0, v1
	s_cbranch_execz .LBB5_8
; %bb.7:
	v_lshrrev_b32_e32 v14, 3, v0
	s_delay_alu instid0(VALU_DEP_1)
	v_and_b32_e32 v14, 0x7c, v14
	ds_store_b32 v14, v13
.LBB5_8:
	s_or_b32 exec_lo, exec_lo, s13
	s_delay_alu instid0(SALU_CYCLE_1)
	s_mov_b32 s13, exec_lo
	s_waitcnt lgkmcnt(0)
	s_barrier
	buffer_gl0_inv
	v_cmpx_gt_u32_e32 32, v0
	s_cbranch_execz .LBB5_10
; %bb.9:
	v_lshlrev_b32_e32 v1, 2, v1
	ds_load_b32 v1, v1
	s_waitcnt lgkmcnt(0)
	ds_bpermute_b32 v2, v2, v1
	s_waitcnt lgkmcnt(0)
	v_dual_add_f32 v2, v1, v2 :: v_dual_add_nc_u32 v13, 31, v5
	s_delay_alu instid0(VALU_DEP_1) | instskip(NEXT) | instid1(VALU_DEP_1)
	v_lshrrev_b32_e32 v13, 5, v13
	v_cmp_lt_u32_e32 vcc_lo, v3, v13
	s_delay_alu instid0(VALU_DEP_3) | instskip(SKIP_4) | instid1(VALU_DEP_1)
	v_cndmask_b32_e32 v1, v1, v2, vcc_lo
	v_cmp_lt_u32_e32 vcc_lo, v6, v13
	ds_bpermute_b32 v2, v4, v1
	s_waitcnt lgkmcnt(0)
	v_add_f32_e32 v2, v1, v2
	v_cndmask_b32_e32 v1, v1, v2, vcc_lo
	v_cmp_lt_u32_e32 vcc_lo, v8, v13
	ds_bpermute_b32 v2, v7, v1
	s_waitcnt lgkmcnt(0)
	v_add_f32_e32 v2, v1, v2
	s_delay_alu instid0(VALU_DEP_1) | instskip(SKIP_4) | instid1(VALU_DEP_1)
	v_cndmask_b32_e32 v1, v1, v2, vcc_lo
	v_cmp_lt_u32_e32 vcc_lo, v10, v13
	ds_bpermute_b32 v2, v9, v1
	s_waitcnt lgkmcnt(0)
	v_add_f32_e32 v2, v1, v2
	v_cndmask_b32_e32 v1, v1, v2, vcc_lo
	v_cmp_lt_u32_e32 vcc_lo, v12, v13
	ds_bpermute_b32 v2, v11, v1
	s_waitcnt lgkmcnt(0)
	v_add_f32_e32 v2, v1, v2
	s_delay_alu instid0(VALU_DEP_1)
	v_cndmask_b32_e32 v13, v1, v2, vcc_lo
.LBB5_10:
	s_or_b32 exec_lo, exec_lo, s13
	s_delay_alu instid0(SALU_CYCLE_1)
	s_mov_b32 s13, exec_lo
	v_cmpx_eq_u32_e32 0, v0
	s_cbranch_execz .LBB5_12
; %bb.11:
	v_cvt_f32_i32_e32 v1, s3
	s_load_b32 s0, s[0:1], 0x28
	s_delay_alu instid0(VALU_DEP_1) | instskip(SKIP_1) | instid1(VALU_DEP_2)
	v_div_scale_f32 v2, null, v1, v1, v13
	v_div_scale_f32 v6, vcc_lo, v13, v1, v13
	v_rcp_f32_e32 v3, v2
	s_waitcnt_depctr 0xfff
	v_fma_f32 v4, -v2, v3, 1.0
	s_delay_alu instid0(VALU_DEP_1) | instskip(NEXT) | instid1(VALU_DEP_1)
	v_fmac_f32_e32 v3, v4, v3
	v_mul_f32_e32 v4, v6, v3
	s_delay_alu instid0(VALU_DEP_1) | instskip(NEXT) | instid1(VALU_DEP_1)
	v_fma_f32 v7, -v2, v4, v6
	v_fmac_f32_e32 v4, v7, v3
	s_delay_alu instid0(VALU_DEP_1) | instskip(NEXT) | instid1(VALU_DEP_1)
	v_fma_f32 v2, -v2, v4, v6
	v_div_fmas_f32 v2, v2, v3, v4
	s_delay_alu instid0(VALU_DEP_1) | instskip(SKIP_1) | instid1(VALU_DEP_1)
	v_div_fixup_f32 v1, v2, v1, v13
	s_waitcnt lgkmcnt(0)
	v_add_f32_e32 v1, s0, v1
	s_delay_alu instid0(VALU_DEP_1) | instskip(SKIP_1) | instid1(VALU_DEP_2)
	v_mul_f32_e32 v2, 0x4b800000, v1
	v_cmp_gt_f32_e32 vcc_lo, 0x800000, v1
	v_cndmask_b32_e32 v1, v1, v2, vcc_lo
	s_delay_alu instid0(VALU_DEP_1) | instskip(SKIP_2) | instid1(VALU_DEP_1)
	v_rsq_f32_e32 v1, v1
	s_waitcnt_depctr 0xfff
	v_mul_f32_e32 v2, 0x45800000, v1
	v_dual_cndmask_b32 v1, v1, v2 :: v_dual_mov_b32 v2, 0
	ds_store_b32 v2, v1 offset:128
.LBB5_12:
	s_or_b32 exec_lo, exec_lo, s13
	s_waitcnt lgkmcnt(0)
	s_barrier
	buffer_gl0_inv
	s_and_saveexec_b32 s0, s2
	s_cbranch_execz .LBB5_25
; %bb.13:
	s_load_b32 s0, s[6:7], 0x0
	s_mul_i32 s15, s15, s3
	s_mov_b32 s2, 0
	s_mov_b32 s6, 0x43600000
	s_waitcnt lgkmcnt(0)
	v_div_scale_f32 v1, null, s0, s0, 1.0
	v_div_scale_f32 v4, vcc_lo, 1.0, s0, 1.0
	s_delay_alu instid0(VALU_DEP_2) | instskip(SKIP_2) | instid1(VALU_DEP_1)
	v_rcp_f32_e32 v3, v1
	s_waitcnt_depctr 0xfff
	v_fma_f32 v2, -v1, v3, 1.0
	v_dual_fmac_f32 v3, v2, v3 :: v_dual_mov_b32 v2, 0
	s_delay_alu instid0(VALU_DEP_1) | instskip(NEXT) | instid1(VALU_DEP_1)
	v_mul_f32_e32 v7, v4, v3
	v_fma_f32 v6, -v1, v7, v4
	s_delay_alu instid0(VALU_DEP_1) | instskip(SKIP_2) | instid1(VALU_DEP_1)
	v_fmac_f32_e32 v7, v6, v3
	ds_load_b32 v6, v2 offset:128
	v_fma_f32 v1, -v1, v7, v4
	v_div_fmas_f32 v1, v1, v3, v7
	s_delay_alu instid0(VALU_DEP_1)
	v_div_fixup_f32 v7, v1, s0, 1.0
	s_branch .LBB5_18
.LBB5_14:                               ;   in Loop: Header=BB5_18 Depth=1
	s_or_b32 exec_lo, exec_lo, s0
	s_delay_alu instid0(VALU_DEP_2) | instskip(NEXT) | instid1(VALU_DEP_2)
	v_lshrrev_b64 v[3:4], 20, v[3:4]
	v_cmp_gt_i32_e32 vcc_lo, 16, v1
	v_and_b32_e32 v8, 0x80, v8
	v_min_i32_e32 v9, 15, v1
	v_cmp_eq_u32_e64 s0, 0, v1
	v_dual_cndmask_b32 v3, 7, v3 :: v_dual_cndmask_b32 v4, 0, v4
	s_delay_alu instid0(VALU_DEP_3) | instskip(NEXT) | instid1(VALU_DEP_2)
	v_lshl_or_b32 v8, v9, 3, v8
	v_cmp_eq_u64_e32 vcc_lo, 0, v[3:4]
	s_delay_alu instid0(VALU_DEP_2)
	v_and_or_b32 v1, v3, 7, v8
	s_and_b32 s0, s0, vcc_lo
	s_delay_alu instid0(VALU_DEP_1) | instid1(SALU_CYCLE_1)
	v_cndmask_b32_e64 v3, v1, 0, s0
.LBB5_15:                               ;   in Loop: Header=BB5_18 Depth=1
	s_or_b32 exec_lo, exec_lo, s14
.LBB5_16:                               ;   in Loop: Header=BB5_18 Depth=1
	s_and_not1_saveexec_b32 s0, s13
	s_delay_alu instid0(SALU_CYCLE_1)
	s_or_b32 exec_lo, exec_lo, s0
.LBB5_17:                               ;   in Loop: Header=BB5_18 Depth=1
	s_and_not1_saveexec_b32 s0, s7
	s_delay_alu instid0(SALU_CYCLE_1)
	s_or_b32 exec_lo, exec_lo, s0
	v_add_nc_u32_e32 v1, s15, v0
	v_add_nc_u32_e32 v0, v0, v5
	global_store_b8 v1, v3, s[10:11]
	v_cmp_le_i32_e32 vcc_lo, s3, v0
	s_or_b32 s2, vcc_lo, s2
	s_delay_alu instid0(SALU_CYCLE_1)
	s_and_not1_b32 exec_lo, exec_lo, s2
	s_cbranch_execz .LBB5_25
.LBB5_18:                               ; =>This Inner Loop Header: Depth=1
	v_add_nc_u32_e32 v1, s12, v0
	s_mov_b32 s0, exec_lo
	s_delay_alu instid0(VALU_DEP_1) | instskip(SKIP_1) | instid1(VALU_DEP_2)
	v_lshlrev_b64 v[3:4], 1, v[1:2]
	v_ashrrev_i32_e32 v1, 31, v0
	v_add_co_u32 v3, vcc_lo, s8, v3
	s_delay_alu instid0(VALU_DEP_3) | instskip(SKIP_2) | instid1(VALU_DEP_1)
	v_add_co_ci_u32_e32 v4, vcc_lo, s9, v4, vcc_lo
	global_load_u16 v8, v[3:4], off
	v_lshlrev_b64 v[3:4], 1, v[0:1]
	v_add_co_u32 v3, vcc_lo, s4, v3
	s_delay_alu instid0(VALU_DEP_2) | instskip(SKIP_4) | instid1(VALU_DEP_1)
	v_add_co_ci_u32_e32 v4, vcc_lo, s5, v4, vcc_lo
	global_load_u16 v1, v[3:4], off
	s_waitcnt vmcnt(1)
	v_lshlrev_b32_e32 v3, 16, v8
	s_waitcnt lgkmcnt(0)
	v_mul_f32_e32 v3, v6, v3
	s_delay_alu instid0(VALU_DEP_1) | instskip(SKIP_2) | instid1(VALU_DEP_2)
	v_bfe_u32 v4, v3, 16, 1
	s_waitcnt vmcnt(0)
	v_lshlrev_b32_e32 v1, 16, v1
	v_add3_u32 v4, v3, v4, 0x7fff
	s_delay_alu instid0(VALU_DEP_1) | instskip(SKIP_1) | instid1(VALU_DEP_2)
	v_and_b32_e32 v4, 0xffff0000, v4
	v_cmp_o_f32_e32 vcc_lo, v3, v3
	v_cndmask_b32_e32 v3, 0x7fc00000, v4, vcc_lo
	s_delay_alu instid0(VALU_DEP_1) | instskip(NEXT) | instid1(VALU_DEP_1)
	v_mul_f32_e32 v1, v3, v1
	v_bfe_u32 v3, v1, 16, 1
	v_cmp_o_f32_e32 vcc_lo, v1, v1
	s_delay_alu instid0(VALU_DEP_2) | instskip(NEXT) | instid1(VALU_DEP_1)
	v_add3_u32 v3, v1, v3, 0x7fff
	v_and_b32_e32 v3, 0xffff0000, v3
	s_delay_alu instid0(VALU_DEP_1) | instskip(NEXT) | instid1(VALU_DEP_1)
	v_cndmask_b32_e32 v1, 0x7fc00000, v3, vcc_lo
	v_mul_f32_e32 v1, v7, v1
	s_delay_alu instid0(VALU_DEP_1) | instskip(NEXT) | instid1(VALU_DEP_1)
	v_minmax_f32 v4, v1, s6, 0xc3600000
	v_lshrrev_b32_e32 v8, 24, v4
	v_and_b32_e32 v1, 0x7f800000, v4
	s_delay_alu instid0(VALU_DEP_2) | instskip(NEXT) | instid1(VALU_DEP_2)
	v_or_b32_e32 v3, 0x7f, v8
	v_cmpx_ne_u64_e32 0x7f800000, v[1:2]
	s_xor_b32 s7, exec_lo, s0
	s_cbranch_execz .LBB5_17
; %bb.19:                               ;   in Loop: Header=BB5_18 Depth=1
	v_and_b32_e32 v1, 0x7fffffff, v4
	s_mov_b32 s0, exec_lo
	s_delay_alu instid0(VALU_DEP_1)
	v_cmpx_gt_u64_e32 0x43700001, v[1:2]
	s_xor_b32 s13, exec_lo, s0
	s_cbranch_execz .LBB5_16
; %bb.20:                               ;   in Loop: Header=BB5_18 Depth=1
	v_mov_b32_e32 v3, 0
	s_mov_b32 s14, exec_lo
	v_cmpx_ne_u32_e32 0, v4
	s_cbranch_execz .LBB5_15
; %bb.21:                               ;   in Loop: Header=BB5_18 Depth=1
	v_bfe_u32 v13, v4, 23, 8
	v_and_b32_e32 v3, 0x7fffff, v4
	s_delay_alu instid0(VALU_DEP_2) | instskip(SKIP_2) | instid1(VALU_DEP_3)
	v_sub_nc_u32_e64 v1, 0x78, v13 clamp
	v_cmp_eq_u32_e32 vcc_lo, 0, v13
	v_add_nc_u32_e32 v13, 0xffffff89, v13
	v_cndmask_b32_e64 v14, v1, 0x77, vcc_lo
	v_or_b32_e32 v1, 0x800000, v3
	s_delay_alu instid0(VALU_DEP_1) | instskip(SKIP_1) | instid1(VALU_DEP_2)
	v_dual_cndmask_b32 v1, v1, v3 :: v_dual_add_nc_u32 v4, 20, v14
	v_add_nc_u32_e32 v9, 19, v14
	v_lshlrev_b64 v[3:4], v4, -1
	s_delay_alu instid0(VALU_DEP_3) | instskip(NEXT) | instid1(VALU_DEP_3)
	v_lshrrev_b64 v[11:12], v14, v[1:2]
	v_lshlrev_b64 v[9:10], v9, 1
	v_mov_b32_e32 v4, v2
	s_delay_alu instid0(VALU_DEP_4) | instskip(NEXT) | instid1(VALU_DEP_1)
	v_not_b32_e32 v3, v3
	v_and_b32_e32 v3, v1, v3
	v_and_b32_e32 v1, 0x100000, v11
	s_delay_alu instid0(VALU_DEP_2) | instskip(NEXT) | instid1(VALU_DEP_2)
	v_cmp_eq_u64_e64 s0, v[3:4], v[9:10]
	v_cmp_eq_u64_e64 s1, 0, v[1:2]
	v_cndmask_b32_e64 v1, v13, 0xffffff8a, vcc_lo
	v_lshrrev_b32_e32 v3, 23, v11
	s_delay_alu instid0(VALU_DEP_3) | instskip(NEXT) | instid1(VALU_DEP_1)
	s_and_b32 vcc_lo, s1, s0
	v_add3_u32 v9, v1, v14, v3
	v_subrev_co_ci_u32_e32 v4, vcc_lo, 0, v11, vcc_lo
	s_mov_b32 s0, exec_lo
	s_delay_alu instid0(VALU_DEP_2) | instskip(NEXT) | instid1(VALU_DEP_2)
	v_add_nc_u32_e32 v10, -1, v9
	v_and_b32_e32 v1, 0xfffff, v4
	s_delay_alu instid0(VALU_DEP_1) | instskip(SKIP_1) | instid1(VALU_DEP_4)
	v_add_co_u32 v3, vcc_lo, v1, v11
	v_add_co_ci_u32_e32 v4, vcc_lo, 0, v12, vcc_lo
                                        ; implicit-def: $vgpr1
	v_cmpx_ne_u32_e32 0, v10
	s_xor_b32 s0, exec_lo, s0
; %bb.22:                               ;   in Loop: Header=BB5_18 Depth=1
	s_delay_alu instid0(VALU_DEP_3) | instskip(SKIP_1) | instid1(VALU_DEP_2)
	v_and_b32_e32 v1, 0x1000000, v3
	v_bfe_u32 v11, v3, 24, 1
	v_cmp_eq_u64_e32 vcc_lo, 0, v[1:2]
	s_delay_alu instid0(VALU_DEP_2)
	v_lshrrev_b64 v[3:4], v11, v[3:4]
	v_cndmask_b32_e32 v1, v9, v10, vcc_lo
; %bb.23:                               ;   in Loop: Header=BB5_18 Depth=1
	s_and_not1_saveexec_b32 s0, s0
	s_cbranch_execz .LBB5_14
; %bb.24:                               ;   in Loop: Header=BB5_18 Depth=1
	s_delay_alu instid0(VALU_DEP_2)
	v_bfe_u32 v1, v3, 23, 1
	s_branch .LBB5_14
.LBB5_25:
	s_nop 0
	s_sendmsg sendmsg(MSG_DEALLOC_VGPRS)
	s_endpgm
	.section	.rodata,"a",@progbits
	.p2align	6, 0x0
	.amdhsa_kernel _ZN4vllm32rms_norm_static_fp8_quant_kernelIN3c108BFloat16ENS1_15Float8_e4m3fnuzEEEvPT0_PKT_iS8_PKffii
		.amdhsa_group_segment_fixed_size 132
		.amdhsa_private_segment_fixed_size 0
		.amdhsa_kernarg_size 312
		.amdhsa_user_sgpr_count 15
		.amdhsa_user_sgpr_dispatch_ptr 0
		.amdhsa_user_sgpr_queue_ptr 0
		.amdhsa_user_sgpr_kernarg_segment_ptr 1
		.amdhsa_user_sgpr_dispatch_id 0
		.amdhsa_user_sgpr_private_segment_size 0
		.amdhsa_wavefront_size32 1
		.amdhsa_uses_dynamic_stack 0
		.amdhsa_enable_private_segment 0
		.amdhsa_system_sgpr_workgroup_id_x 1
		.amdhsa_system_sgpr_workgroup_id_y 0
		.amdhsa_system_sgpr_workgroup_id_z 0
		.amdhsa_system_sgpr_workgroup_info 0
		.amdhsa_system_vgpr_workitem_id 0
		.amdhsa_next_free_vgpr 16
		.amdhsa_next_free_sgpr 17
		.amdhsa_reserve_vcc 1
		.amdhsa_float_round_mode_32 0
		.amdhsa_float_round_mode_16_64 0
		.amdhsa_float_denorm_mode_32 3
		.amdhsa_float_denorm_mode_16_64 3
		.amdhsa_dx10_clamp 1
		.amdhsa_ieee_mode 1
		.amdhsa_fp16_overflow 0
		.amdhsa_workgroup_processor_mode 1
		.amdhsa_memory_ordered 1
		.amdhsa_forward_progress 0
		.amdhsa_shared_vgpr_count 0
		.amdhsa_exception_fp_ieee_invalid_op 0
		.amdhsa_exception_fp_denorm_src 0
		.amdhsa_exception_fp_ieee_div_zero 0
		.amdhsa_exception_fp_ieee_overflow 0
		.amdhsa_exception_fp_ieee_underflow 0
		.amdhsa_exception_fp_ieee_inexact 0
		.amdhsa_exception_int_div_zero 0
	.end_amdhsa_kernel
	.section	.text._ZN4vllm32rms_norm_static_fp8_quant_kernelIN3c108BFloat16ENS1_15Float8_e4m3fnuzEEEvPT0_PKT_iS8_PKffii,"axG",@progbits,_ZN4vllm32rms_norm_static_fp8_quant_kernelIN3c108BFloat16ENS1_15Float8_e4m3fnuzEEEvPT0_PKT_iS8_PKffii,comdat
.Lfunc_end5:
	.size	_ZN4vllm32rms_norm_static_fp8_quant_kernelIN3c108BFloat16ENS1_15Float8_e4m3fnuzEEEvPT0_PKT_iS8_PKffii, .Lfunc_end5-_ZN4vllm32rms_norm_static_fp8_quant_kernelIN3c108BFloat16ENS1_15Float8_e4m3fnuzEEEvPT0_PKT_iS8_PKffii
                                        ; -- End function
	.section	.AMDGPU.csdata,"",@progbits
; Kernel info:
; codeLenInByte = 1932
; NumSgprs: 19
; NumVgprs: 16
; ScratchSize: 0
; MemoryBound: 0
; FloatMode: 240
; IeeeMode: 1
; LDSByteSize: 132 bytes/workgroup (compile time only)
; SGPRBlocks: 2
; VGPRBlocks: 1
; NumSGPRsForWavesPerEU: 19
; NumVGPRsForWavesPerEU: 16
; Occupancy: 16
; WaveLimiterHint : 0
; COMPUTE_PGM_RSRC2:SCRATCH_EN: 0
; COMPUTE_PGM_RSRC2:USER_SGPR: 15
; COMPUTE_PGM_RSRC2:TRAP_HANDLER: 0
; COMPUTE_PGM_RSRC2:TGID_X_EN: 1
; COMPUTE_PGM_RSRC2:TGID_Y_EN: 0
; COMPUTE_PGM_RSRC2:TGID_Z_EN: 0
; COMPUTE_PGM_RSRC2:TIDIG_COMP_CNT: 0
	.section	.text._ZN4vllm42fused_add_rms_norm_static_fp8_quant_kernelIfLi8EN3c1013Float8_e4m3fnEEENSt9enable_ifIXooeqT0_Li0Entsr12_typeConvertIT_EE6existsEvE4typeEPT1_PS4_iS9_PKS4_PKffii,"axG",@progbits,_ZN4vllm42fused_add_rms_norm_static_fp8_quant_kernelIfLi8EN3c1013Float8_e4m3fnEEENSt9enable_ifIXooeqT0_Li0Entsr12_typeConvertIT_EE6existsEvE4typeEPT1_PS4_iS9_PKS4_PKffii,comdat
	.protected	_ZN4vllm42fused_add_rms_norm_static_fp8_quant_kernelIfLi8EN3c1013Float8_e4m3fnEEENSt9enable_ifIXooeqT0_Li0Entsr12_typeConvertIT_EE6existsEvE4typeEPT1_PS4_iS9_PKS4_PKffii ; -- Begin function _ZN4vllm42fused_add_rms_norm_static_fp8_quant_kernelIfLi8EN3c1013Float8_e4m3fnEEENSt9enable_ifIXooeqT0_Li0Entsr12_typeConvertIT_EE6existsEvE4typeEPT1_PS4_iS9_PKS4_PKffii
	.globl	_ZN4vllm42fused_add_rms_norm_static_fp8_quant_kernelIfLi8EN3c1013Float8_e4m3fnEEENSt9enable_ifIXooeqT0_Li0Entsr12_typeConvertIT_EE6existsEvE4typeEPT1_PS4_iS9_PKS4_PKffii
	.p2align	8
	.type	_ZN4vllm42fused_add_rms_norm_static_fp8_quant_kernelIfLi8EN3c1013Float8_e4m3fnEEENSt9enable_ifIXooeqT0_Li0Entsr12_typeConvertIT_EE6existsEvE4typeEPT1_PS4_iS9_PKS4_PKffii,@function
_ZN4vllm42fused_add_rms_norm_static_fp8_quant_kernelIfLi8EN3c1013Float8_e4m3fnEEENSt9enable_ifIXooeqT0_Li0Entsr12_typeConvertIT_EE6existsEvE4typeEPT1_PS4_iS9_PKS4_PKffii: ; @_ZN4vllm42fused_add_rms_norm_static_fp8_quant_kernelIfLi8EN3c1013Float8_e4m3fnEEENSt9enable_ifIXooeqT0_Li0Entsr12_typeConvertIT_EE6existsEvE4typeEPT1_PS4_iS9_PKS4_PKffii
; %bb.0:
	s_clause 0x1
	s_load_b32 s3, s[0:1], 0x38
	s_load_b64 s[8:9], s[0:1], 0x18
	s_mov_b32 s4, exec_lo
                                        ; implicit-def: $sgpr13
                                        ; implicit-def: $sgpr12
	s_waitcnt lgkmcnt(0)
	v_cmp_gt_i32_e64 s2, s3, v0
	v_cmpx_le_i32_e64 s3, v0
	s_xor_b32 s4, exec_lo, s4
	s_cbranch_execz .LBB6_2
; %bb.1:
	s_load_b32 s5, s[0:1], 0x4c
	s_mov_b32 s13, 0
	s_waitcnt lgkmcnt(0)
	s_and_b32 s12, s5, 0xffff
.LBB6_2:
	s_or_saveexec_b32 s16, s4
	s_clause 0x1
	s_load_b64 s[10:11], s[0:1], 0x0
	s_load_b128 s[4:7], s[0:1], 0x20
	v_dual_mov_b32 v3, s13 :: v_dual_mov_b32 v6, s12
	s_mul_i32 s14, s15, s3
	s_xor_b32 exec_lo, exec_lo, s16
	s_cbranch_execz .LBB6_6
; %bb.3:
	s_clause 0x2
	s_load_b32 s17, s[0:1], 0x10
	s_load_b32 s18, s[0:1], 0x4c
	s_load_b64 s[12:13], s[0:1], 0x8
	v_dual_mov_b32 v2, 0 :: v_dual_mov_b32 v3, 0
	v_mov_b32_e32 v4, v0
	s_waitcnt lgkmcnt(0)
	s_mul_i32 s17, s15, s17
	s_and_b32 s15, s18, 0xffff
	s_mov_b32 s18, 0
	.p2align	6
.LBB6_4:                                ; =>This Inner Loop Header: Depth=1
	v_add_nc_u32_e32 v1, s17, v4
	s_delay_alu instid0(VALU_DEP_1) | instskip(SKIP_1) | instid1(VALU_DEP_1)
	v_lshlrev_b64 v[5:6], 2, v[1:2]
	v_add_nc_u32_e32 v1, s14, v4
	v_lshlrev_b64 v[7:8], 2, v[1:2]
	s_delay_alu instid0(VALU_DEP_3) | instskip(NEXT) | instid1(VALU_DEP_4)
	v_add_co_u32 v5, vcc_lo, s12, v5
	v_add_co_ci_u32_e32 v6, vcc_lo, s13, v6, vcc_lo
	s_delay_alu instid0(VALU_DEP_3) | instskip(NEXT) | instid1(VALU_DEP_4)
	v_add_co_u32 v7, vcc_lo, s8, v7
	v_add_co_ci_u32_e32 v8, vcc_lo, s9, v8, vcc_lo
	global_load_b32 v1, v[5:6], off
	global_load_b32 v5, v[7:8], off
	s_waitcnt vmcnt(0)
	v_dual_add_f32 v1, v1, v5 :: v_dual_add_nc_u32 v4, s15, v4
	s_delay_alu instid0(VALU_DEP_1) | instskip(NEXT) | instid1(VALU_DEP_2)
	v_cmp_le_i32_e32 vcc_lo, s3, v4
	v_fmac_f32_e32 v3, v1, v1
	s_or_b32 s18, vcc_lo, s18
	global_store_b32 v[7:8], v1, off
	s_and_not1_b32 exec_lo, exec_lo, s18
	s_cbranch_execnz .LBB6_4
; %bb.5:
	s_or_b32 exec_lo, exec_lo, s18
	v_mov_b32_e32 v6, s15
.LBB6_6:
	s_or_b32 exec_lo, exec_lo, s16
	v_mbcnt_lo_u32_b32 v1, -1, 0
	v_and_b32_e32 v4, 0x3e0, v0
	s_mov_b32 s12, exec_lo
	s_delay_alu instid0(VALU_DEP_2) | instskip(NEXT) | instid1(VALU_DEP_2)
	v_cmp_ne_u32_e32 vcc_lo, 31, v1
	v_sub_nc_u32_e64 v13, v6, v4 clamp
	v_add_nc_u32_e32 v4, 1, v1
	v_add_co_ci_u32_e32 v2, vcc_lo, 0, v1, vcc_lo
	v_cmp_gt_u32_e32 vcc_lo, 30, v1
	s_delay_alu instid0(VALU_DEP_2)
	v_lshlrev_b32_e32 v2, 2, v2
	v_cndmask_b32_e64 v7, 0, 1, vcc_lo
	v_cmp_lt_u32_e32 vcc_lo, v4, v13
	ds_bpermute_b32 v5, v2, v3
	s_waitcnt lgkmcnt(0)
	v_dual_add_f32 v8, v3, v5 :: v_dual_lshlrev_b32 v7, 1, v7
	s_delay_alu instid0(VALU_DEP_1) | instskip(NEXT) | instid1(VALU_DEP_2)
	v_add_lshl_u32 v5, v7, v1, 2
	v_cndmask_b32_e32 v8, v3, v8, vcc_lo
	v_cmp_gt_u32_e32 vcc_lo, 28, v1
	v_cndmask_b32_e64 v3, 0, 1, vcc_lo
	s_delay_alu instid0(VALU_DEP_1) | instskip(SKIP_3) | instid1(VALU_DEP_1)
	v_lshlrev_b32_e32 v9, 2, v3
	ds_bpermute_b32 v7, v5, v8
	s_waitcnt lgkmcnt(0)
	v_dual_add_f32 v10, v8, v7 :: v_dual_add_nc_u32 v3, 2, v1
	v_cmp_lt_u32_e32 vcc_lo, v3, v13
	v_add_lshl_u32 v7, v9, v1, 2
	s_delay_alu instid0(VALU_DEP_3) | instskip(SKIP_2) | instid1(VALU_DEP_1)
	v_cndmask_b32_e32 v10, v8, v10, vcc_lo
	v_cmp_gt_u32_e32 vcc_lo, 24, v1
	v_cndmask_b32_e64 v8, 0, 1, vcc_lo
	v_lshlrev_b32_e32 v11, 3, v8
	ds_bpermute_b32 v9, v7, v10
	v_add_nc_u32_e32 v8, 4, v1
	s_delay_alu instid0(VALU_DEP_1) | instskip(SKIP_3) | instid1(VALU_DEP_2)
	v_cmp_lt_u32_e32 vcc_lo, v8, v13
	s_waitcnt lgkmcnt(0)
	v_add_f32_e32 v12, v10, v9
	v_add_lshl_u32 v9, v11, v1, 2
	v_cndmask_b32_e32 v12, v10, v12, vcc_lo
	v_cmp_gt_u32_e32 vcc_lo, 16, v1
	ds_bpermute_b32 v11, v9, v12
	v_cndmask_b32_e64 v10, 0, 1, vcc_lo
	s_delay_alu instid0(VALU_DEP_1) | instskip(SKIP_1) | instid1(VALU_DEP_1)
	v_lshlrev_b32_e32 v14, 4, v10
	v_add_nc_u32_e32 v10, 8, v1
	v_cmp_lt_u32_e32 vcc_lo, v10, v13
	s_waitcnt lgkmcnt(0)
	v_add_f32_e32 v15, v12, v11
	v_add_lshl_u32 v11, v14, v1, 2
	s_delay_alu instid0(VALU_DEP_2)
	v_cndmask_b32_e32 v14, v12, v15, vcc_lo
	v_add_nc_u32_e32 v12, 16, v1
	ds_bpermute_b32 v15, v11, v14
	v_cmp_lt_u32_e32 vcc_lo, v12, v13
	s_waitcnt lgkmcnt(0)
	v_add_f32_e32 v15, v14, v15
	s_delay_alu instid0(VALU_DEP_1)
	v_cndmask_b32_e32 v13, v14, v15, vcc_lo
	v_cmpx_eq_u32_e32 0, v1
	s_cbranch_execz .LBB6_8
; %bb.7:
	v_lshrrev_b32_e32 v14, 3, v0
	s_delay_alu instid0(VALU_DEP_1)
	v_and_b32_e32 v14, 0x7c, v14
	ds_store_b32 v14, v13
.LBB6_8:
	s_or_b32 exec_lo, exec_lo, s12
	s_delay_alu instid0(SALU_CYCLE_1)
	s_mov_b32 s12, exec_lo
	s_waitcnt lgkmcnt(0)
	s_waitcnt_vscnt null, 0x0
	s_barrier
	buffer_gl0_inv
	v_cmpx_gt_u32_e32 32, v0
	s_cbranch_execz .LBB6_10
; %bb.9:
	v_lshlrev_b32_e32 v1, 2, v1
	v_add_nc_u32_e32 v13, 31, v6
	ds_load_b32 v1, v1
	v_lshrrev_b32_e32 v13, 5, v13
	s_delay_alu instid0(VALU_DEP_1) | instskip(SKIP_4) | instid1(VALU_DEP_1)
	v_cmp_lt_u32_e32 vcc_lo, v4, v13
	s_waitcnt lgkmcnt(0)
	ds_bpermute_b32 v2, v2, v1
	s_waitcnt lgkmcnt(0)
	v_add_f32_e32 v2, v1, v2
	v_cndmask_b32_e32 v1, v1, v2, vcc_lo
	v_cmp_lt_u32_e32 vcc_lo, v3, v13
	ds_bpermute_b32 v2, v5, v1
	s_waitcnt lgkmcnt(0)
	v_add_f32_e32 v2, v1, v2
	s_delay_alu instid0(VALU_DEP_1) | instskip(SKIP_4) | instid1(VALU_DEP_1)
	v_cndmask_b32_e32 v1, v1, v2, vcc_lo
	v_cmp_lt_u32_e32 vcc_lo, v8, v13
	ds_bpermute_b32 v2, v7, v1
	s_waitcnt lgkmcnt(0)
	v_add_f32_e32 v2, v1, v2
	v_cndmask_b32_e32 v1, v1, v2, vcc_lo
	v_cmp_lt_u32_e32 vcc_lo, v10, v13
	ds_bpermute_b32 v2, v9, v1
	s_waitcnt lgkmcnt(0)
	v_add_f32_e32 v2, v1, v2
	s_delay_alu instid0(VALU_DEP_1) | instskip(SKIP_4) | instid1(VALU_DEP_1)
	v_cndmask_b32_e32 v1, v1, v2, vcc_lo
	v_cmp_lt_u32_e32 vcc_lo, v12, v13
	ds_bpermute_b32 v2, v11, v1
	s_waitcnt lgkmcnt(0)
	v_add_f32_e32 v2, v1, v2
	v_cndmask_b32_e32 v13, v1, v2, vcc_lo
.LBB6_10:
	s_or_b32 exec_lo, exec_lo, s12
	s_delay_alu instid0(SALU_CYCLE_1)
	s_mov_b32 s12, exec_lo
	v_cmpx_eq_u32_e32 0, v0
	s_cbranch_execz .LBB6_12
; %bb.11:
	v_cvt_f32_i32_e32 v1, s3
	s_load_b32 s0, s[0:1], 0x30
	s_delay_alu instid0(VALU_DEP_1) | instskip(SKIP_1) | instid1(VALU_DEP_2)
	v_div_scale_f32 v2, null, v1, v1, v13
	v_div_scale_f32 v5, vcc_lo, v13, v1, v13
	v_rcp_f32_e32 v3, v2
	s_waitcnt_depctr 0xfff
	v_fma_f32 v4, -v2, v3, 1.0
	s_delay_alu instid0(VALU_DEP_1) | instskip(NEXT) | instid1(VALU_DEP_1)
	v_fmac_f32_e32 v3, v4, v3
	v_mul_f32_e32 v4, v5, v3
	s_delay_alu instid0(VALU_DEP_1) | instskip(NEXT) | instid1(VALU_DEP_1)
	v_fma_f32 v7, -v2, v4, v5
	v_fmac_f32_e32 v4, v7, v3
	s_delay_alu instid0(VALU_DEP_1) | instskip(NEXT) | instid1(VALU_DEP_1)
	v_fma_f32 v2, -v2, v4, v5
	v_div_fmas_f32 v2, v2, v3, v4
	s_delay_alu instid0(VALU_DEP_1) | instskip(SKIP_1) | instid1(VALU_DEP_1)
	v_div_fixup_f32 v1, v2, v1, v13
	s_waitcnt lgkmcnt(0)
	v_add_f32_e32 v1, s0, v1
	s_delay_alu instid0(VALU_DEP_1) | instskip(SKIP_1) | instid1(VALU_DEP_2)
	v_mul_f32_e32 v2, 0x4b800000, v1
	v_cmp_gt_f32_e32 vcc_lo, 0x800000, v1
	v_cndmask_b32_e32 v1, v1, v2, vcc_lo
	s_delay_alu instid0(VALU_DEP_1) | instskip(SKIP_2) | instid1(VALU_DEP_1)
	v_rsq_f32_e32 v1, v1
	s_waitcnt_depctr 0xfff
	v_mul_f32_e32 v2, 0x45800000, v1
	v_dual_cndmask_b32 v1, v1, v2 :: v_dual_mov_b32 v2, 0
	ds_store_b32 v2, v1 offset:128
.LBB6_12:
	s_or_b32 exec_lo, exec_lo, s12
	s_waitcnt lgkmcnt(0)
	s_barrier
	buffer_gl0_inv
	s_and_saveexec_b32 s0, s2
	s_cbranch_execz .LBB6_31
; %bb.13:
	s_load_b32 s0, s[6:7], 0x0
	s_mov_b32 s2, 0
	s_mov_b32 s6, 0x43e00000
	s_waitcnt lgkmcnt(0)
	v_div_scale_f32 v1, null, s0, s0, 1.0
	v_div_scale_f32 v4, vcc_lo, 1.0, s0, 1.0
	s_delay_alu instid0(VALU_DEP_2) | instskip(SKIP_2) | instid1(VALU_DEP_1)
	v_rcp_f32_e32 v2, v1
	s_waitcnt_depctr 0xfff
	v_fma_f32 v3, -v1, v2, 1.0
	v_dual_fmac_f32 v2, v3, v2 :: v_dual_mov_b32 v3, 0
	s_delay_alu instid0(VALU_DEP_1) | instskip(NEXT) | instid1(VALU_DEP_1)
	v_mul_f32_e32 v5, v4, v2
	v_fma_f32 v7, -v1, v5, v4
	s_delay_alu instid0(VALU_DEP_1) | instskip(SKIP_2) | instid1(VALU_DEP_1)
	v_fmac_f32_e32 v5, v7, v2
	ds_load_b32 v7, v3 offset:128
	v_fma_f32 v1, -v1, v5, v4
	v_div_fmas_f32 v1, v1, v2, v5
	s_delay_alu instid0(VALU_DEP_1)
	v_div_fixup_f32 v8, v1, s0, 1.0
	s_branch .LBB6_15
.LBB6_14:                               ;   in Loop: Header=BB6_15 Depth=1
	s_or_b32 exec_lo, exec_lo, s0
	v_add_nc_u32_e32 v0, v0, v6
	v_add_co_u32 v1, s0, s10, v2
	s_delay_alu instid0(VALU_DEP_1) | instskip(NEXT) | instid1(VALU_DEP_3)
	v_add_co_ci_u32_e64 v2, null, s11, 0, s0
	v_cmp_le_i32_e32 vcc_lo, s3, v0
	global_store_b8 v[1:2], v9, off
	s_or_b32 s2, vcc_lo, s2
	s_delay_alu instid0(SALU_CYCLE_1)
	s_and_not1_b32 exec_lo, exec_lo, s2
	s_cbranch_execz .LBB6_31
.LBB6_15:                               ; =>This Inner Loop Header: Depth=1
	v_add_nc_u32_e32 v2, s14, v0
	v_ashrrev_i32_e32 v1, 31, v0
	v_mov_b32_e32 v13, v3
	s_mov_b32 s0, exec_lo
	s_delay_alu instid0(VALU_DEP_3) | instskip(NEXT) | instid1(VALU_DEP_3)
	v_lshlrev_b64 v[4:5], 2, v[2:3]
	v_lshlrev_b64 v[9:10], 2, v[0:1]
	s_delay_alu instid0(VALU_DEP_2) | instskip(NEXT) | instid1(VALU_DEP_3)
	v_add_co_u32 v4, vcc_lo, s8, v4
	v_add_co_ci_u32_e32 v5, vcc_lo, s9, v5, vcc_lo
	global_load_b32 v1, v[4:5], off
	v_add_co_u32 v4, vcc_lo, s4, v9
	v_add_co_ci_u32_e32 v5, vcc_lo, s5, v10, vcc_lo
	global_load_b32 v4, v[4:5], off
	v_mov_b32_e32 v5, v3
	s_waitcnt vmcnt(1) lgkmcnt(0)
	v_mul_f32_e32 v1, v1, v7
	s_waitcnt vmcnt(0)
	s_delay_alu instid0(VALU_DEP_1) | instskip(NEXT) | instid1(VALU_DEP_1)
	v_mul_f32_e32 v1, v1, v4
	v_mul_f32_e32 v1, v8, v1
	s_delay_alu instid0(VALU_DEP_1) | instskip(NEXT) | instid1(VALU_DEP_1)
	v_minmax_f32 v10, v1, s6, 0xc3e00000
	v_and_b32_e32 v4, 0x7fffff, v10
	v_lshrrev_b32_e32 v11, 24, v10
	v_and_b32_e32 v12, 0x7f800000, v10
	s_delay_alu instid0(VALU_DEP_2) | instskip(NEXT) | instid1(VALU_DEP_1)
	v_and_b32_e32 v1, 0x80, v11
	v_or_b32_e32 v9, 0x7e, v1
	s_delay_alu instid0(VALU_DEP_3)
	v_cmpx_ne_u64_e32 0x7f800000, v[12:13]
	s_xor_b32 s7, exec_lo, s0
	s_cbranch_execz .LBB6_29
; %bb.16:                               ;   in Loop: Header=BB6_15 Depth=1
	v_dual_mov_b32 v12, v3 :: v_dual_and_b32 v11, 0x7fffffff, v10
	s_mov_b32 s0, exec_lo
	s_delay_alu instid0(VALU_DEP_1)
	v_cmpx_gt_u64_e32 0x43e00001, v[11:12]
	s_xor_b32 s12, exec_lo, s0
	s_cbranch_execz .LBB6_28
; %bb.17:                               ;   in Loop: Header=BB6_15 Depth=1
	v_mov_b32_e32 v9, 0
	s_mov_b32 s13, exec_lo
	v_cmpx_ne_u32_e32 0, v10
	s_cbranch_execz .LBB6_27
; %bb.18:                               ;   in Loop: Header=BB6_15 Depth=1
	v_bfe_u32 v11, v10, 23, 8
	s_delay_alu instid0(VALU_DEP_1) | instskip(SKIP_2) | instid1(VALU_DEP_3)
	v_sub_nc_u32_e64 v9, 0x79, v11 clamp
	v_cmp_eq_u32_e32 vcc_lo, 0, v11
	v_add_nc_u32_e32 v11, 0xffffff88, v11
	v_cndmask_b32_e64 v16, v9, 0x78, vcc_lo
	v_or_b32_e32 v9, 0x800000, v4
	s_delay_alu instid0(VALU_DEP_2) | instskip(NEXT) | instid1(VALU_DEP_2)
	v_add_nc_u32_e32 v10, 20, v16
	v_cndmask_b32_e32 v4, v9, v4, vcc_lo
	v_add_nc_u32_e32 v14, 19, v16
	s_delay_alu instid0(VALU_DEP_3) | instskip(NEXT) | instid1(VALU_DEP_3)
	v_lshlrev_b64 v[9:10], v10, -1
	v_lshrrev_b64 v[12:13], v16, v[4:5]
	s_delay_alu instid0(VALU_DEP_3) | instskip(NEXT) | instid1(VALU_DEP_3)
	v_lshlrev_b64 v[14:15], v14, 1
	v_not_b32_e32 v5, v10
	s_delay_alu instid0(VALU_DEP_4) | instskip(NEXT) | instid1(VALU_DEP_4)
	v_not_b32_e32 v17, v9
	v_dual_mov_b32 v10, v3 :: v_dual_and_b32 v9, 0x100000, v12
	s_delay_alu instid0(VALU_DEP_3) | instskip(NEXT) | instid1(VALU_DEP_3)
	v_and_b32_e32 v5, 0, v5
	v_and_b32_e32 v4, v4, v17
	s_delay_alu instid0(VALU_DEP_3) | instskip(NEXT) | instid1(VALU_DEP_2)
	v_cmp_eq_u64_e64 s0, 0, v[9:10]
	v_cmp_eq_u64_e64 s1, v[4:5], v[14:15]
	v_cndmask_b32_e64 v4, v11, 0xffffff89, vcc_lo
	v_lshrrev_b32_e32 v5, 23, v12
	s_delay_alu instid0(VALU_DEP_3) | instskip(NEXT) | instid1(VALU_DEP_1)
	s_and_b32 vcc_lo, s0, s1
	v_add3_u32 v9, v4, v16, v5
	v_subrev_co_ci_u32_e32 v10, vcc_lo, 0, v12, vcc_lo
	s_mov_b32 s0, exec_lo
	s_delay_alu instid0(VALU_DEP_2) | instskip(NEXT) | instid1(VALU_DEP_2)
	v_add_nc_u32_e32 v11, -1, v9
	v_and_b32_e32 v4, 0xfffff, v10
                                        ; implicit-def: $vgpr10
	s_delay_alu instid0(VALU_DEP_1) | instskip(SKIP_1) | instid1(VALU_DEP_4)
	v_add_co_u32 v4, vcc_lo, v4, v12
	v_add_co_ci_u32_e32 v5, vcc_lo, 0, v13, vcc_lo
	v_cmpx_ne_u32_e32 0, v11
	s_xor_b32 s0, exec_lo, s0
; %bb.19:                               ;   in Loop: Header=BB6_15 Depth=1
	s_delay_alu instid0(VALU_DEP_3) | instskip(SKIP_1) | instid1(VALU_DEP_2)
	v_dual_mov_b32 v13, v3 :: v_dual_and_b32 v12, 0x1000000, v4
	v_bfe_u32 v10, v4, 24, 1
	v_cmp_eq_u64_e32 vcc_lo, 0, v[12:13]
	s_delay_alu instid0(VALU_DEP_2)
	v_lshrrev_b64 v[4:5], v10, v[4:5]
	v_cndmask_b32_e32 v10, v9, v11, vcc_lo
; %bb.20:                               ;   in Loop: Header=BB6_15 Depth=1
	s_and_not1_saveexec_b32 s0, s0
; %bb.21:                               ;   in Loop: Header=BB6_15 Depth=1
	s_delay_alu instid0(VALU_DEP_2)
	v_bfe_u32 v10, v4, 23, 1
; %bb.22:                               ;   in Loop: Header=BB6_15 Depth=1
	s_or_b32 exec_lo, exec_lo, s0
	s_delay_alu instid0(VALU_DEP_3) | instskip(NEXT) | instid1(VALU_DEP_2)
	v_lshrrev_b64 v[4:5], 20, v[4:5]
	v_cmp_gt_i32_e32 vcc_lo, 16, v10
	v_cmp_ne_u32_e64 s0, 0, v10
                                        ; implicit-def: $vgpr9
	s_delay_alu instid0(VALU_DEP_3) | instskip(NEXT) | instid1(VALU_DEP_1)
	v_dual_cndmask_b32 v5, 0, v5 :: v_dual_cndmask_b32 v4, 7, v4
	v_cmp_ne_u64_e32 vcc_lo, 0, v[4:5]
	s_delay_alu instid0(VALU_DEP_3) | instskip(NEXT) | instid1(SALU_CYCLE_1)
	s_or_b32 s0, s0, vcc_lo
	s_and_saveexec_b32 s1, s0
	s_delay_alu instid0(SALU_CYCLE_1)
	s_xor_b32 s0, exec_lo, s1
; %bb.23:                               ;   in Loop: Header=BB6_15 Depth=1
	v_min_i32_e32 v5, 15, v10
	s_delay_alu instid0(VALU_DEP_1) | instskip(NEXT) | instid1(VALU_DEP_1)
	v_lshl_or_b32 v1, v5, 3, v1
	v_and_or_b32 v9, v4, 7, v1
                                        ; implicit-def: $vgpr1
; %bb.24:                               ;   in Loop: Header=BB6_15 Depth=1
	s_and_not1_saveexec_b32 s0, s0
; %bb.25:                               ;   in Loop: Header=BB6_15 Depth=1
	v_mov_b32_e32 v9, v1
; %bb.26:                               ;   in Loop: Header=BB6_15 Depth=1
	s_or_b32 exec_lo, exec_lo, s0
.LBB6_27:                               ;   in Loop: Header=BB6_15 Depth=1
	s_delay_alu instid0(SALU_CYCLE_1)
	s_or_b32 exec_lo, exec_lo, s13
.LBB6_28:                               ;   in Loop: Header=BB6_15 Depth=1
	s_and_not1_saveexec_b32 s0, s12
	s_delay_alu instid0(SALU_CYCLE_1)
	s_or_b32 exec_lo, exec_lo, s0
                                        ; implicit-def: $vgpr11
                                        ; implicit-def: $vgpr4_vgpr5
.LBB6_29:                               ;   in Loop: Header=BB6_15 Depth=1
	s_and_not1_saveexec_b32 s0, s7
	s_cbranch_execz .LBB6_14
; %bb.30:                               ;   in Loop: Header=BB6_15 Depth=1
	v_cmp_eq_u64_e32 vcc_lo, 0, v[4:5]
	v_or_b32_e32 v1, 0x7f, v11
	s_delay_alu instid0(VALU_DEP_1)
	v_cndmask_b32_e32 v9, v1, v9, vcc_lo
	s_branch .LBB6_14
.LBB6_31:
	s_nop 0
	s_sendmsg sendmsg(MSG_DEALLOC_VGPRS)
	s_endpgm
	.section	.rodata,"a",@progbits
	.p2align	6, 0x0
	.amdhsa_kernel _ZN4vllm42fused_add_rms_norm_static_fp8_quant_kernelIfLi8EN3c1013Float8_e4m3fnEEENSt9enable_ifIXooeqT0_Li0Entsr12_typeConvertIT_EE6existsEvE4typeEPT1_PS4_iS9_PKS4_PKffii
		.amdhsa_group_segment_fixed_size 132
		.amdhsa_private_segment_fixed_size 0
		.amdhsa_kernarg_size 320
		.amdhsa_user_sgpr_count 15
		.amdhsa_user_sgpr_dispatch_ptr 0
		.amdhsa_user_sgpr_queue_ptr 0
		.amdhsa_user_sgpr_kernarg_segment_ptr 1
		.amdhsa_user_sgpr_dispatch_id 0
		.amdhsa_user_sgpr_private_segment_size 0
		.amdhsa_wavefront_size32 1
		.amdhsa_uses_dynamic_stack 0
		.amdhsa_enable_private_segment 0
		.amdhsa_system_sgpr_workgroup_id_x 1
		.amdhsa_system_sgpr_workgroup_id_y 0
		.amdhsa_system_sgpr_workgroup_id_z 0
		.amdhsa_system_sgpr_workgroup_info 0
		.amdhsa_system_vgpr_workitem_id 0
		.amdhsa_next_free_vgpr 18
		.amdhsa_next_free_sgpr 19
		.amdhsa_reserve_vcc 1
		.amdhsa_float_round_mode_32 0
		.amdhsa_float_round_mode_16_64 0
		.amdhsa_float_denorm_mode_32 3
		.amdhsa_float_denorm_mode_16_64 3
		.amdhsa_dx10_clamp 1
		.amdhsa_ieee_mode 1
		.amdhsa_fp16_overflow 0
		.amdhsa_workgroup_processor_mode 1
		.amdhsa_memory_ordered 1
		.amdhsa_forward_progress 0
		.amdhsa_shared_vgpr_count 0
		.amdhsa_exception_fp_ieee_invalid_op 0
		.amdhsa_exception_fp_denorm_src 0
		.amdhsa_exception_fp_ieee_div_zero 0
		.amdhsa_exception_fp_ieee_overflow 0
		.amdhsa_exception_fp_ieee_underflow 0
		.amdhsa_exception_fp_ieee_inexact 0
		.amdhsa_exception_int_div_zero 0
	.end_amdhsa_kernel
	.section	.text._ZN4vllm42fused_add_rms_norm_static_fp8_quant_kernelIfLi8EN3c1013Float8_e4m3fnEEENSt9enable_ifIXooeqT0_Li0Entsr12_typeConvertIT_EE6existsEvE4typeEPT1_PS4_iS9_PKS4_PKffii,"axG",@progbits,_ZN4vllm42fused_add_rms_norm_static_fp8_quant_kernelIfLi8EN3c1013Float8_e4m3fnEEENSt9enable_ifIXooeqT0_Li0Entsr12_typeConvertIT_EE6existsEvE4typeEPT1_PS4_iS9_PKS4_PKffii,comdat
.Lfunc_end6:
	.size	_ZN4vllm42fused_add_rms_norm_static_fp8_quant_kernelIfLi8EN3c1013Float8_e4m3fnEEENSt9enable_ifIXooeqT0_Li0Entsr12_typeConvertIT_EE6existsEvE4typeEPT1_PS4_iS9_PKS4_PKffii, .Lfunc_end6-_ZN4vllm42fused_add_rms_norm_static_fp8_quant_kernelIfLi8EN3c1013Float8_e4m3fnEEENSt9enable_ifIXooeqT0_Li0Entsr12_typeConvertIT_EE6existsEvE4typeEPT1_PS4_iS9_PKS4_PKffii
                                        ; -- End function
	.section	.AMDGPU.csdata,"",@progbits
; Kernel info:
; codeLenInByte = 1964
; NumSgprs: 21
; NumVgprs: 18
; ScratchSize: 0
; MemoryBound: 0
; FloatMode: 240
; IeeeMode: 1
; LDSByteSize: 132 bytes/workgroup (compile time only)
; SGPRBlocks: 2
; VGPRBlocks: 2
; NumSGPRsForWavesPerEU: 21
; NumVGPRsForWavesPerEU: 18
; Occupancy: 16
; WaveLimiterHint : 0
; COMPUTE_PGM_RSRC2:SCRATCH_EN: 0
; COMPUTE_PGM_RSRC2:USER_SGPR: 15
; COMPUTE_PGM_RSRC2:TRAP_HANDLER: 0
; COMPUTE_PGM_RSRC2:TGID_X_EN: 1
; COMPUTE_PGM_RSRC2:TGID_Y_EN: 0
; COMPUTE_PGM_RSRC2:TGID_Z_EN: 0
; COMPUTE_PGM_RSRC2:TIDIG_COMP_CNT: 0
	.section	.text._ZN4vllm42fused_add_rms_norm_static_fp8_quant_kernelIfLi8EN3c1015Float8_e4m3fnuzEEENSt9enable_ifIXooeqT0_Li0Entsr12_typeConvertIT_EE6existsEvE4typeEPT1_PS4_iS9_PKS4_PKffii,"axG",@progbits,_ZN4vllm42fused_add_rms_norm_static_fp8_quant_kernelIfLi8EN3c1015Float8_e4m3fnuzEEENSt9enable_ifIXooeqT0_Li0Entsr12_typeConvertIT_EE6existsEvE4typeEPT1_PS4_iS9_PKS4_PKffii,comdat
	.protected	_ZN4vllm42fused_add_rms_norm_static_fp8_quant_kernelIfLi8EN3c1015Float8_e4m3fnuzEEENSt9enable_ifIXooeqT0_Li0Entsr12_typeConvertIT_EE6existsEvE4typeEPT1_PS4_iS9_PKS4_PKffii ; -- Begin function _ZN4vllm42fused_add_rms_norm_static_fp8_quant_kernelIfLi8EN3c1015Float8_e4m3fnuzEEENSt9enable_ifIXooeqT0_Li0Entsr12_typeConvertIT_EE6existsEvE4typeEPT1_PS4_iS9_PKS4_PKffii
	.globl	_ZN4vllm42fused_add_rms_norm_static_fp8_quant_kernelIfLi8EN3c1015Float8_e4m3fnuzEEENSt9enable_ifIXooeqT0_Li0Entsr12_typeConvertIT_EE6existsEvE4typeEPT1_PS4_iS9_PKS4_PKffii
	.p2align	8
	.type	_ZN4vllm42fused_add_rms_norm_static_fp8_quant_kernelIfLi8EN3c1015Float8_e4m3fnuzEEENSt9enable_ifIXooeqT0_Li0Entsr12_typeConvertIT_EE6existsEvE4typeEPT1_PS4_iS9_PKS4_PKffii,@function
_ZN4vllm42fused_add_rms_norm_static_fp8_quant_kernelIfLi8EN3c1015Float8_e4m3fnuzEEENSt9enable_ifIXooeqT0_Li0Entsr12_typeConvertIT_EE6existsEvE4typeEPT1_PS4_iS9_PKS4_PKffii: ; @_ZN4vllm42fused_add_rms_norm_static_fp8_quant_kernelIfLi8EN3c1015Float8_e4m3fnuzEEENSt9enable_ifIXooeqT0_Li0Entsr12_typeConvertIT_EE6existsEvE4typeEPT1_PS4_iS9_PKS4_PKffii
; %bb.0:
	s_clause 0x1
	s_load_b32 s3, s[0:1], 0x38
	s_load_b64 s[8:9], s[0:1], 0x18
	s_mov_b32 s4, exec_lo
                                        ; implicit-def: $sgpr13
                                        ; implicit-def: $sgpr12
	s_waitcnt lgkmcnt(0)
	v_cmp_gt_i32_e64 s2, s3, v0
	v_cmpx_le_i32_e64 s3, v0
	s_xor_b32 s4, exec_lo, s4
	s_cbranch_execz .LBB7_2
; %bb.1:
	s_load_b32 s5, s[0:1], 0x4c
	s_mov_b32 s13, 0
	s_waitcnt lgkmcnt(0)
	s_and_b32 s12, s5, 0xffff
.LBB7_2:
	s_or_saveexec_b32 s16, s4
	s_clause 0x1
	s_load_b64 s[10:11], s[0:1], 0x0
	s_load_b128 s[4:7], s[0:1], 0x20
	v_dual_mov_b32 v3, s13 :: v_dual_mov_b32 v6, s12
	s_mul_i32 s14, s15, s3
	s_xor_b32 exec_lo, exec_lo, s16
	s_cbranch_execz .LBB7_6
; %bb.3:
	s_clause 0x2
	s_load_b32 s17, s[0:1], 0x10
	s_load_b32 s18, s[0:1], 0x4c
	s_load_b64 s[12:13], s[0:1], 0x8
	v_dual_mov_b32 v2, 0 :: v_dual_mov_b32 v3, 0
	v_mov_b32_e32 v4, v0
	s_waitcnt lgkmcnt(0)
	s_mul_i32 s17, s15, s17
	s_and_b32 s15, s18, 0xffff
	s_mov_b32 s18, 0
	.p2align	6
.LBB7_4:                                ; =>This Inner Loop Header: Depth=1
	v_add_nc_u32_e32 v1, s17, v4
	s_delay_alu instid0(VALU_DEP_1) | instskip(SKIP_1) | instid1(VALU_DEP_1)
	v_lshlrev_b64 v[5:6], 2, v[1:2]
	v_add_nc_u32_e32 v1, s14, v4
	v_lshlrev_b64 v[7:8], 2, v[1:2]
	s_delay_alu instid0(VALU_DEP_3) | instskip(NEXT) | instid1(VALU_DEP_4)
	v_add_co_u32 v5, vcc_lo, s12, v5
	v_add_co_ci_u32_e32 v6, vcc_lo, s13, v6, vcc_lo
	s_delay_alu instid0(VALU_DEP_3) | instskip(NEXT) | instid1(VALU_DEP_4)
	v_add_co_u32 v7, vcc_lo, s8, v7
	v_add_co_ci_u32_e32 v8, vcc_lo, s9, v8, vcc_lo
	global_load_b32 v1, v[5:6], off
	global_load_b32 v5, v[7:8], off
	s_waitcnt vmcnt(0)
	v_dual_add_f32 v1, v1, v5 :: v_dual_add_nc_u32 v4, s15, v4
	s_delay_alu instid0(VALU_DEP_1) | instskip(NEXT) | instid1(VALU_DEP_2)
	v_cmp_le_i32_e32 vcc_lo, s3, v4
	v_fmac_f32_e32 v3, v1, v1
	s_or_b32 s18, vcc_lo, s18
	global_store_b32 v[7:8], v1, off
	s_and_not1_b32 exec_lo, exec_lo, s18
	s_cbranch_execnz .LBB7_4
; %bb.5:
	s_or_b32 exec_lo, exec_lo, s18
	v_mov_b32_e32 v6, s15
.LBB7_6:
	s_or_b32 exec_lo, exec_lo, s16
	v_mbcnt_lo_u32_b32 v1, -1, 0
	v_and_b32_e32 v4, 0x3e0, v0
	s_mov_b32 s12, exec_lo
	s_delay_alu instid0(VALU_DEP_2) | instskip(NEXT) | instid1(VALU_DEP_2)
	v_cmp_ne_u32_e32 vcc_lo, 31, v1
	v_sub_nc_u32_e64 v13, v6, v4 clamp
	v_add_nc_u32_e32 v4, 1, v1
	v_add_co_ci_u32_e32 v2, vcc_lo, 0, v1, vcc_lo
	v_cmp_gt_u32_e32 vcc_lo, 30, v1
	s_delay_alu instid0(VALU_DEP_2)
	v_lshlrev_b32_e32 v2, 2, v2
	v_cndmask_b32_e64 v7, 0, 1, vcc_lo
	v_cmp_lt_u32_e32 vcc_lo, v4, v13
	ds_bpermute_b32 v5, v2, v3
	s_waitcnt lgkmcnt(0)
	v_dual_add_f32 v8, v3, v5 :: v_dual_lshlrev_b32 v7, 1, v7
	s_delay_alu instid0(VALU_DEP_1) | instskip(NEXT) | instid1(VALU_DEP_2)
	v_add_lshl_u32 v5, v7, v1, 2
	v_cndmask_b32_e32 v8, v3, v8, vcc_lo
	v_cmp_gt_u32_e32 vcc_lo, 28, v1
	v_cndmask_b32_e64 v3, 0, 1, vcc_lo
	s_delay_alu instid0(VALU_DEP_1) | instskip(SKIP_3) | instid1(VALU_DEP_1)
	v_lshlrev_b32_e32 v9, 2, v3
	ds_bpermute_b32 v7, v5, v8
	s_waitcnt lgkmcnt(0)
	v_dual_add_f32 v10, v8, v7 :: v_dual_add_nc_u32 v3, 2, v1
	v_cmp_lt_u32_e32 vcc_lo, v3, v13
	v_add_lshl_u32 v7, v9, v1, 2
	s_delay_alu instid0(VALU_DEP_3) | instskip(SKIP_2) | instid1(VALU_DEP_1)
	v_cndmask_b32_e32 v10, v8, v10, vcc_lo
	v_cmp_gt_u32_e32 vcc_lo, 24, v1
	v_cndmask_b32_e64 v8, 0, 1, vcc_lo
	v_lshlrev_b32_e32 v11, 3, v8
	ds_bpermute_b32 v9, v7, v10
	v_add_nc_u32_e32 v8, 4, v1
	s_delay_alu instid0(VALU_DEP_1) | instskip(SKIP_3) | instid1(VALU_DEP_2)
	v_cmp_lt_u32_e32 vcc_lo, v8, v13
	s_waitcnt lgkmcnt(0)
	v_add_f32_e32 v12, v10, v9
	v_add_lshl_u32 v9, v11, v1, 2
	v_cndmask_b32_e32 v12, v10, v12, vcc_lo
	v_cmp_gt_u32_e32 vcc_lo, 16, v1
	ds_bpermute_b32 v11, v9, v12
	v_cndmask_b32_e64 v10, 0, 1, vcc_lo
	s_delay_alu instid0(VALU_DEP_1) | instskip(SKIP_1) | instid1(VALU_DEP_1)
	v_lshlrev_b32_e32 v14, 4, v10
	v_add_nc_u32_e32 v10, 8, v1
	v_cmp_lt_u32_e32 vcc_lo, v10, v13
	s_waitcnt lgkmcnt(0)
	v_add_f32_e32 v15, v12, v11
	v_add_lshl_u32 v11, v14, v1, 2
	s_delay_alu instid0(VALU_DEP_2)
	v_cndmask_b32_e32 v14, v12, v15, vcc_lo
	v_add_nc_u32_e32 v12, 16, v1
	ds_bpermute_b32 v15, v11, v14
	v_cmp_lt_u32_e32 vcc_lo, v12, v13
	s_waitcnt lgkmcnt(0)
	v_add_f32_e32 v15, v14, v15
	s_delay_alu instid0(VALU_DEP_1)
	v_cndmask_b32_e32 v13, v14, v15, vcc_lo
	v_cmpx_eq_u32_e32 0, v1
	s_cbranch_execz .LBB7_8
; %bb.7:
	v_lshrrev_b32_e32 v14, 3, v0
	s_delay_alu instid0(VALU_DEP_1)
	v_and_b32_e32 v14, 0x7c, v14
	ds_store_b32 v14, v13
.LBB7_8:
	s_or_b32 exec_lo, exec_lo, s12
	s_delay_alu instid0(SALU_CYCLE_1)
	s_mov_b32 s12, exec_lo
	s_waitcnt lgkmcnt(0)
	s_waitcnt_vscnt null, 0x0
	s_barrier
	buffer_gl0_inv
	v_cmpx_gt_u32_e32 32, v0
	s_cbranch_execz .LBB7_10
; %bb.9:
	v_lshlrev_b32_e32 v1, 2, v1
	v_add_nc_u32_e32 v13, 31, v6
	ds_load_b32 v1, v1
	v_lshrrev_b32_e32 v13, 5, v13
	s_delay_alu instid0(VALU_DEP_1) | instskip(SKIP_4) | instid1(VALU_DEP_1)
	v_cmp_lt_u32_e32 vcc_lo, v4, v13
	s_waitcnt lgkmcnt(0)
	ds_bpermute_b32 v2, v2, v1
	s_waitcnt lgkmcnt(0)
	v_add_f32_e32 v2, v1, v2
	v_cndmask_b32_e32 v1, v1, v2, vcc_lo
	v_cmp_lt_u32_e32 vcc_lo, v3, v13
	ds_bpermute_b32 v2, v5, v1
	s_waitcnt lgkmcnt(0)
	v_add_f32_e32 v2, v1, v2
	s_delay_alu instid0(VALU_DEP_1) | instskip(SKIP_4) | instid1(VALU_DEP_1)
	v_cndmask_b32_e32 v1, v1, v2, vcc_lo
	v_cmp_lt_u32_e32 vcc_lo, v8, v13
	ds_bpermute_b32 v2, v7, v1
	s_waitcnt lgkmcnt(0)
	v_add_f32_e32 v2, v1, v2
	v_cndmask_b32_e32 v1, v1, v2, vcc_lo
	v_cmp_lt_u32_e32 vcc_lo, v10, v13
	ds_bpermute_b32 v2, v9, v1
	s_waitcnt lgkmcnt(0)
	v_add_f32_e32 v2, v1, v2
	s_delay_alu instid0(VALU_DEP_1) | instskip(SKIP_4) | instid1(VALU_DEP_1)
	v_cndmask_b32_e32 v1, v1, v2, vcc_lo
	v_cmp_lt_u32_e32 vcc_lo, v12, v13
	ds_bpermute_b32 v2, v11, v1
	s_waitcnt lgkmcnt(0)
	v_add_f32_e32 v2, v1, v2
	v_cndmask_b32_e32 v13, v1, v2, vcc_lo
.LBB7_10:
	s_or_b32 exec_lo, exec_lo, s12
	s_delay_alu instid0(SALU_CYCLE_1)
	s_mov_b32 s12, exec_lo
	v_cmpx_eq_u32_e32 0, v0
	s_cbranch_execz .LBB7_12
; %bb.11:
	v_cvt_f32_i32_e32 v1, s3
	s_load_b32 s0, s[0:1], 0x30
	s_delay_alu instid0(VALU_DEP_1) | instskip(SKIP_1) | instid1(VALU_DEP_2)
	v_div_scale_f32 v2, null, v1, v1, v13
	v_div_scale_f32 v5, vcc_lo, v13, v1, v13
	v_rcp_f32_e32 v3, v2
	s_waitcnt_depctr 0xfff
	v_fma_f32 v4, -v2, v3, 1.0
	s_delay_alu instid0(VALU_DEP_1) | instskip(NEXT) | instid1(VALU_DEP_1)
	v_fmac_f32_e32 v3, v4, v3
	v_mul_f32_e32 v4, v5, v3
	s_delay_alu instid0(VALU_DEP_1) | instskip(NEXT) | instid1(VALU_DEP_1)
	v_fma_f32 v7, -v2, v4, v5
	v_fmac_f32_e32 v4, v7, v3
	s_delay_alu instid0(VALU_DEP_1) | instskip(NEXT) | instid1(VALU_DEP_1)
	v_fma_f32 v2, -v2, v4, v5
	v_div_fmas_f32 v2, v2, v3, v4
	s_delay_alu instid0(VALU_DEP_1) | instskip(SKIP_1) | instid1(VALU_DEP_1)
	v_div_fixup_f32 v1, v2, v1, v13
	s_waitcnt lgkmcnt(0)
	v_add_f32_e32 v1, s0, v1
	s_delay_alu instid0(VALU_DEP_1) | instskip(SKIP_1) | instid1(VALU_DEP_2)
	v_mul_f32_e32 v2, 0x4b800000, v1
	v_cmp_gt_f32_e32 vcc_lo, 0x800000, v1
	v_cndmask_b32_e32 v1, v1, v2, vcc_lo
	s_delay_alu instid0(VALU_DEP_1) | instskip(SKIP_2) | instid1(VALU_DEP_1)
	v_rsq_f32_e32 v1, v1
	s_waitcnt_depctr 0xfff
	v_mul_f32_e32 v2, 0x45800000, v1
	v_dual_cndmask_b32 v1, v1, v2 :: v_dual_mov_b32 v2, 0
	ds_store_b32 v2, v1 offset:128
.LBB7_12:
	s_or_b32 exec_lo, exec_lo, s12
	s_waitcnt lgkmcnt(0)
	s_barrier
	buffer_gl0_inv
	s_and_saveexec_b32 s0, s2
	s_cbranch_execz .LBB7_25
; %bb.13:
	s_load_b32 s0, s[6:7], 0x0
	s_mov_b32 s2, 0
	s_mov_b32 s6, 0x43600000
	s_waitcnt lgkmcnt(0)
	v_div_scale_f32 v1, null, s0, s0, 1.0
	v_div_scale_f32 v4, vcc_lo, 1.0, s0, 1.0
	s_delay_alu instid0(VALU_DEP_2) | instskip(SKIP_2) | instid1(VALU_DEP_1)
	v_rcp_f32_e32 v2, v1
	s_waitcnt_depctr 0xfff
	v_fma_f32 v3, -v1, v2, 1.0
	v_dual_fmac_f32 v2, v3, v2 :: v_dual_mov_b32 v3, 0
	s_delay_alu instid0(VALU_DEP_1) | instskip(NEXT) | instid1(VALU_DEP_1)
	v_mul_f32_e32 v5, v4, v2
	v_fma_f32 v7, -v1, v5, v4
	s_delay_alu instid0(VALU_DEP_1) | instskip(SKIP_2) | instid1(VALU_DEP_1)
	v_fmac_f32_e32 v5, v7, v2
	ds_load_b32 v7, v3 offset:128
	v_fma_f32 v1, -v1, v5, v4
	v_div_fmas_f32 v1, v1, v2, v5
	s_delay_alu instid0(VALU_DEP_1)
	v_div_fixup_f32 v8, v1, s0, 1.0
	s_branch .LBB7_18
.LBB7_14:                               ;   in Loop: Header=BB7_18 Depth=1
	s_or_b32 exec_lo, exec_lo, s0
	s_delay_alu instid0(VALU_DEP_2) | instskip(NEXT) | instid1(VALU_DEP_2)
	v_lshrrev_b64 v[4:5], 20, v[4:5]
	v_cmp_gt_i32_e32 vcc_lo, 16, v9
	v_and_b32_e32 v1, 0x80, v1
	v_min_i32_e32 v10, 15, v9
	v_cmp_eq_u32_e64 s0, 0, v9
	v_dual_cndmask_b32 v4, 7, v4 :: v_dual_cndmask_b32 v5, 0, v5
	s_delay_alu instid0(VALU_DEP_3) | instskip(NEXT) | instid1(VALU_DEP_2)
	v_lshl_or_b32 v1, v10, 3, v1
	v_cmp_eq_u64_e32 vcc_lo, 0, v[4:5]
	s_delay_alu instid0(VALU_DEP_2)
	v_and_or_b32 v1, v4, 7, v1
	s_and_b32 s0, s0, vcc_lo
	s_delay_alu instid0(VALU_DEP_1) | instid1(SALU_CYCLE_1)
	v_cndmask_b32_e64 v4, v1, 0, s0
.LBB7_15:                               ;   in Loop: Header=BB7_18 Depth=1
	s_or_b32 exec_lo, exec_lo, s13
.LBB7_16:                               ;   in Loop: Header=BB7_18 Depth=1
	s_and_not1_saveexec_b32 s0, s12
	s_delay_alu instid0(SALU_CYCLE_1)
	s_or_b32 exec_lo, exec_lo, s0
.LBB7_17:                               ;   in Loop: Header=BB7_18 Depth=1
	s_and_not1_saveexec_b32 s0, s7
	s_delay_alu instid0(SALU_CYCLE_1) | instskip(SKIP_2) | instid1(VALU_DEP_1)
	s_or_b32 exec_lo, exec_lo, s0
	v_add_nc_u32_e32 v0, v0, v6
	v_add_co_u32 v1, s0, s10, v2
	v_add_co_ci_u32_e64 v2, null, s11, 0, s0
	s_delay_alu instid0(VALU_DEP_3) | instskip(SKIP_2) | instid1(SALU_CYCLE_1)
	v_cmp_le_i32_e32 vcc_lo, s3, v0
	global_store_b8 v[1:2], v4, off
	s_or_b32 s2, vcc_lo, s2
	s_and_not1_b32 exec_lo, exec_lo, s2
	s_cbranch_execz .LBB7_25
.LBB7_18:                               ; =>This Inner Loop Header: Depth=1
	v_add_nc_u32_e32 v2, s14, v0
	v_ashrrev_i32_e32 v1, 31, v0
	s_mov_b32 s0, exec_lo
	s_delay_alu instid0(VALU_DEP_2) | instskip(NEXT) | instid1(VALU_DEP_2)
	v_lshlrev_b64 v[4:5], 2, v[2:3]
	v_lshlrev_b64 v[9:10], 2, v[0:1]
	s_delay_alu instid0(VALU_DEP_2) | instskip(NEXT) | instid1(VALU_DEP_3)
	v_add_co_u32 v4, vcc_lo, s8, v4
	v_add_co_ci_u32_e32 v5, vcc_lo, s9, v5, vcc_lo
	s_delay_alu instid0(VALU_DEP_3) | instskip(NEXT) | instid1(VALU_DEP_4)
	v_add_co_u32 v9, vcc_lo, s4, v9
	v_add_co_ci_u32_e32 v10, vcc_lo, s5, v10, vcc_lo
	global_load_b32 v1, v[4:5], off
	global_load_b32 v4, v[9:10], off
	s_waitcnt vmcnt(1) lgkmcnt(0)
	v_dual_mov_b32 v10, v3 :: v_dual_mul_f32 v1, v1, v7
	s_waitcnt vmcnt(0)
	s_delay_alu instid0(VALU_DEP_1) | instskip(NEXT) | instid1(VALU_DEP_1)
	v_mul_f32_e32 v1, v1, v4
	v_mul_f32_e32 v1, v8, v1
	s_delay_alu instid0(VALU_DEP_1) | instskip(NEXT) | instid1(VALU_DEP_1)
	v_minmax_f32 v5, v1, s6, 0xc3600000
	v_lshrrev_b32_e32 v1, 24, v5
	v_and_b32_e32 v9, 0x7f800000, v5
	s_delay_alu instid0(VALU_DEP_2) | instskip(NEXT) | instid1(VALU_DEP_2)
	v_or_b32_e32 v4, 0x7f, v1
	v_cmpx_ne_u64_e32 0x7f800000, v[9:10]
	s_xor_b32 s7, exec_lo, s0
	s_cbranch_execz .LBB7_17
; %bb.19:                               ;   in Loop: Header=BB7_18 Depth=1
	v_dual_mov_b32 v10, v3 :: v_dual_and_b32 v9, 0x7fffffff, v5
	s_mov_b32 s0, exec_lo
	s_delay_alu instid0(VALU_DEP_1)
	v_cmpx_gt_u64_e32 0x43700001, v[9:10]
	s_xor_b32 s12, exec_lo, s0
	s_cbranch_execz .LBB7_16
; %bb.20:                               ;   in Loop: Header=BB7_18 Depth=1
	v_mov_b32_e32 v4, 0
	s_mov_b32 s13, exec_lo
	v_cmpx_ne_u32_e32 0, v5
	s_cbranch_execz .LBB7_15
; %bb.21:                               ;   in Loop: Header=BB7_18 Depth=1
	v_bfe_u32 v11, v5, 23, 8
	v_and_b32_e32 v9, 0x7fffff, v5
	v_mov_b32_e32 v5, v3
	s_delay_alu instid0(VALU_DEP_3) | instskip(SKIP_2) | instid1(VALU_DEP_3)
	v_sub_nc_u32_e64 v4, 0x78, v11 clamp
	v_cmp_eq_u32_e32 vcc_lo, 0, v11
	v_add_nc_u32_e32 v11, 0xffffff89, v11
	v_cndmask_b32_e64 v16, v4, 0x77, vcc_lo
	v_or_b32_e32 v4, 0x800000, v9
	s_delay_alu instid0(VALU_DEP_2) | instskip(NEXT) | instid1(VALU_DEP_2)
	v_add_nc_u32_e32 v10, 20, v16
	v_cndmask_b32_e32 v4, v4, v9, vcc_lo
	v_add_nc_u32_e32 v14, 19, v16
	s_delay_alu instid0(VALU_DEP_3) | instskip(NEXT) | instid1(VALU_DEP_3)
	v_lshlrev_b64 v[9:10], v10, -1
	v_lshrrev_b64 v[12:13], v16, v[4:5]
	s_delay_alu instid0(VALU_DEP_3) | instskip(SKIP_1) | instid1(VALU_DEP_4)
	v_lshlrev_b64 v[14:15], v14, 1
	v_mov_b32_e32 v10, v3
	v_not_b32_e32 v17, v9
	s_delay_alu instid0(VALU_DEP_4) | instskip(NEXT) | instid1(VALU_DEP_2)
	v_and_b32_e32 v9, 0x100000, v12
	v_and_b32_e32 v4, v4, v17
	s_delay_alu instid0(VALU_DEP_2) | instskip(NEXT) | instid1(VALU_DEP_2)
	v_cmp_eq_u64_e64 s0, 0, v[9:10]
	v_cmp_eq_u64_e64 s1, v[4:5], v[14:15]
	v_cndmask_b32_e64 v4, v11, 0xffffff8a, vcc_lo
	v_lshrrev_b32_e32 v5, 23, v12
	s_delay_alu instid0(VALU_DEP_3) | instskip(NEXT) | instid1(VALU_DEP_1)
	s_and_b32 vcc_lo, s0, s1
	v_add3_u32 v10, v4, v16, v5
	v_subrev_co_ci_u32_e32 v9, vcc_lo, 0, v12, vcc_lo
	s_mov_b32 s0, exec_lo
	s_delay_alu instid0(VALU_DEP_2) | instskip(NEXT) | instid1(VALU_DEP_2)
	v_add_nc_u32_e32 v11, -1, v10
	v_and_b32_e32 v4, 0xfffff, v9
                                        ; implicit-def: $vgpr9
	s_delay_alu instid0(VALU_DEP_1) | instskip(SKIP_1) | instid1(VALU_DEP_4)
	v_add_co_u32 v4, vcc_lo, v4, v12
	v_add_co_ci_u32_e32 v5, vcc_lo, 0, v13, vcc_lo
	v_cmpx_ne_u32_e32 0, v11
	s_xor_b32 s0, exec_lo, s0
; %bb.22:                               ;   in Loop: Header=BB7_18 Depth=1
	s_delay_alu instid0(VALU_DEP_3) | instskip(SKIP_1) | instid1(VALU_DEP_2)
	v_dual_mov_b32 v13, v3 :: v_dual_and_b32 v12, 0x1000000, v4
	v_bfe_u32 v9, v4, 24, 1
	v_cmp_eq_u64_e32 vcc_lo, 0, v[12:13]
	s_delay_alu instid0(VALU_DEP_2)
	v_lshrrev_b64 v[4:5], v9, v[4:5]
	v_cndmask_b32_e32 v9, v10, v11, vcc_lo
; %bb.23:                               ;   in Loop: Header=BB7_18 Depth=1
	s_and_not1_saveexec_b32 s0, s0
	s_cbranch_execz .LBB7_14
; %bb.24:                               ;   in Loop: Header=BB7_18 Depth=1
	s_delay_alu instid0(VALU_DEP_2)
	v_bfe_u32 v9, v4, 23, 1
	s_branch .LBB7_14
.LBB7_25:
	s_nop 0
	s_sendmsg sendmsg(MSG_DEALLOC_VGPRS)
	s_endpgm
	.section	.rodata,"a",@progbits
	.p2align	6, 0x0
	.amdhsa_kernel _ZN4vllm42fused_add_rms_norm_static_fp8_quant_kernelIfLi8EN3c1015Float8_e4m3fnuzEEENSt9enable_ifIXooeqT0_Li0Entsr12_typeConvertIT_EE6existsEvE4typeEPT1_PS4_iS9_PKS4_PKffii
		.amdhsa_group_segment_fixed_size 132
		.amdhsa_private_segment_fixed_size 0
		.amdhsa_kernarg_size 320
		.amdhsa_user_sgpr_count 15
		.amdhsa_user_sgpr_dispatch_ptr 0
		.amdhsa_user_sgpr_queue_ptr 0
		.amdhsa_user_sgpr_kernarg_segment_ptr 1
		.amdhsa_user_sgpr_dispatch_id 0
		.amdhsa_user_sgpr_private_segment_size 0
		.amdhsa_wavefront_size32 1
		.amdhsa_uses_dynamic_stack 0
		.amdhsa_enable_private_segment 0
		.amdhsa_system_sgpr_workgroup_id_x 1
		.amdhsa_system_sgpr_workgroup_id_y 0
		.amdhsa_system_sgpr_workgroup_id_z 0
		.amdhsa_system_sgpr_workgroup_info 0
		.amdhsa_system_vgpr_workitem_id 0
		.amdhsa_next_free_vgpr 18
		.amdhsa_next_free_sgpr 19
		.amdhsa_reserve_vcc 1
		.amdhsa_float_round_mode_32 0
		.amdhsa_float_round_mode_16_64 0
		.amdhsa_float_denorm_mode_32 3
		.amdhsa_float_denorm_mode_16_64 3
		.amdhsa_dx10_clamp 1
		.amdhsa_ieee_mode 1
		.amdhsa_fp16_overflow 0
		.amdhsa_workgroup_processor_mode 1
		.amdhsa_memory_ordered 1
		.amdhsa_forward_progress 0
		.amdhsa_shared_vgpr_count 0
		.amdhsa_exception_fp_ieee_invalid_op 0
		.amdhsa_exception_fp_denorm_src 0
		.amdhsa_exception_fp_ieee_div_zero 0
		.amdhsa_exception_fp_ieee_overflow 0
		.amdhsa_exception_fp_ieee_underflow 0
		.amdhsa_exception_fp_ieee_inexact 0
		.amdhsa_exception_int_div_zero 0
	.end_amdhsa_kernel
	.section	.text._ZN4vllm42fused_add_rms_norm_static_fp8_quant_kernelIfLi8EN3c1015Float8_e4m3fnuzEEENSt9enable_ifIXooeqT0_Li0Entsr12_typeConvertIT_EE6existsEvE4typeEPT1_PS4_iS9_PKS4_PKffii,"axG",@progbits,_ZN4vllm42fused_add_rms_norm_static_fp8_quant_kernelIfLi8EN3c1015Float8_e4m3fnuzEEENSt9enable_ifIXooeqT0_Li0Entsr12_typeConvertIT_EE6existsEvE4typeEPT1_PS4_iS9_PKS4_PKffii,comdat
.Lfunc_end7:
	.size	_ZN4vllm42fused_add_rms_norm_static_fp8_quant_kernelIfLi8EN3c1015Float8_e4m3fnuzEEENSt9enable_ifIXooeqT0_Li0Entsr12_typeConvertIT_EE6existsEvE4typeEPT1_PS4_iS9_PKS4_PKffii, .Lfunc_end7-_ZN4vllm42fused_add_rms_norm_static_fp8_quant_kernelIfLi8EN3c1015Float8_e4m3fnuzEEENSt9enable_ifIXooeqT0_Li0Entsr12_typeConvertIT_EE6existsEvE4typeEPT1_PS4_iS9_PKS4_PKffii
                                        ; -- End function
	.section	.AMDGPU.csdata,"",@progbits
; Kernel info:
; codeLenInByte = 1912
; NumSgprs: 21
; NumVgprs: 18
; ScratchSize: 0
; MemoryBound: 0
; FloatMode: 240
; IeeeMode: 1
; LDSByteSize: 132 bytes/workgroup (compile time only)
; SGPRBlocks: 2
; VGPRBlocks: 2
; NumSGPRsForWavesPerEU: 21
; NumVGPRsForWavesPerEU: 18
; Occupancy: 16
; WaveLimiterHint : 0
; COMPUTE_PGM_RSRC2:SCRATCH_EN: 0
; COMPUTE_PGM_RSRC2:USER_SGPR: 15
; COMPUTE_PGM_RSRC2:TRAP_HANDLER: 0
; COMPUTE_PGM_RSRC2:TGID_X_EN: 1
; COMPUTE_PGM_RSRC2:TGID_Y_EN: 0
; COMPUTE_PGM_RSRC2:TGID_Z_EN: 0
; COMPUTE_PGM_RSRC2:TIDIG_COMP_CNT: 0
	.section	.text._ZN4vllm42fused_add_rms_norm_static_fp8_quant_kernelIN3c104HalfELi8ENS1_13Float8_e4m3fnEEENSt9enable_ifIXaagtT0_Li0Esr12_typeConvertIT_EE6existsEvE4typeEPT1_PS5_iSA_PKS5_PKffii,"axG",@progbits,_ZN4vllm42fused_add_rms_norm_static_fp8_quant_kernelIN3c104HalfELi8ENS1_13Float8_e4m3fnEEENSt9enable_ifIXaagtT0_Li0Esr12_typeConvertIT_EE6existsEvE4typeEPT1_PS5_iSA_PKS5_PKffii,comdat
	.protected	_ZN4vllm42fused_add_rms_norm_static_fp8_quant_kernelIN3c104HalfELi8ENS1_13Float8_e4m3fnEEENSt9enable_ifIXaagtT0_Li0Esr12_typeConvertIT_EE6existsEvE4typeEPT1_PS5_iSA_PKS5_PKffii ; -- Begin function _ZN4vllm42fused_add_rms_norm_static_fp8_quant_kernelIN3c104HalfELi8ENS1_13Float8_e4m3fnEEENSt9enable_ifIXaagtT0_Li0Esr12_typeConvertIT_EE6existsEvE4typeEPT1_PS5_iSA_PKS5_PKffii
	.globl	_ZN4vllm42fused_add_rms_norm_static_fp8_quant_kernelIN3c104HalfELi8ENS1_13Float8_e4m3fnEEENSt9enable_ifIXaagtT0_Li0Esr12_typeConvertIT_EE6existsEvE4typeEPT1_PS5_iSA_PKS5_PKffii
	.p2align	8
	.type	_ZN4vllm42fused_add_rms_norm_static_fp8_quant_kernelIN3c104HalfELi8ENS1_13Float8_e4m3fnEEENSt9enable_ifIXaagtT0_Li0Esr12_typeConvertIT_EE6existsEvE4typeEPT1_PS5_iSA_PKS5_PKffii,@function
_ZN4vllm42fused_add_rms_norm_static_fp8_quant_kernelIN3c104HalfELi8ENS1_13Float8_e4m3fnEEENSt9enable_ifIXaagtT0_Li0Esr12_typeConvertIT_EE6existsEvE4typeEPT1_PS5_iSA_PKS5_PKffii: ; @_ZN4vllm42fused_add_rms_norm_static_fp8_quant_kernelIN3c104HalfELi8ENS1_13Float8_e4m3fnEEENSt9enable_ifIXaagtT0_Li0Esr12_typeConvertIT_EE6existsEvE4typeEPT1_PS5_iSA_PKS5_PKffii
; %bb.0:
	s_clause 0x1
	s_load_b32 s16, s[0:1], 0x38
	s_load_b64 s[8:9], s[0:1], 0x18
	s_mov_b32 s4, exec_lo
                                        ; implicit-def: $sgpr13
                                        ; implicit-def: $sgpr12
	s_waitcnt lgkmcnt(0)
	s_ashr_i32 s2, s16, 31
	s_delay_alu instid0(SALU_CYCLE_1) | instskip(NEXT) | instid1(SALU_CYCLE_1)
	s_lshr_b32 s2, s2, 29
	s_add_i32 s2, s16, s2
	s_delay_alu instid0(SALU_CYCLE_1) | instskip(NEXT) | instid1(SALU_CYCLE_1)
	s_ashr_i32 s3, s2, 3
	v_cmp_gt_i32_e64 s2, s3, v0
	v_cmpx_le_i32_e64 s3, v0
	s_xor_b32 s4, exec_lo, s4
	s_cbranch_execz .LBB8_2
; %bb.1:
	s_load_b32 s5, s[0:1], 0x4c
	s_mov_b32 s13, 0
	s_waitcnt lgkmcnt(0)
	s_and_b32 s12, s5, 0xffff
.LBB8_2:
	s_or_saveexec_b32 s17, s4
	s_clause 0x1
	s_load_b64 s[10:11], s[0:1], 0x0
	s_load_b128 s[4:7], s[0:1], 0x20
	v_mov_b32_e32 v1, s13
	v_mov_b32_e32 v9, s12
	s_mul_i32 s14, s3, s15
	s_xor_b32 exec_lo, exec_lo, s17
	s_cbranch_execz .LBB8_6
; %bb.3:
	s_clause 0x2
	s_load_b32 s18, s[0:1], 0x10
	s_load_b32 s19, s[0:1], 0x4c
	s_load_b64 s[12:13], s[0:1], 0x8
	v_dual_mov_b32 v1, 0 :: v_dual_mov_b32 v2, v0
	s_waitcnt lgkmcnt(0)
	s_ashr_i32 s20, s18, 31
	s_delay_alu instid0(SALU_CYCLE_1) | instskip(NEXT) | instid1(SALU_CYCLE_1)
	s_lshr_b32 s20, s20, 29
	s_add_i32 s18, s18, s20
	s_delay_alu instid0(SALU_CYCLE_1)
	s_ashr_i32 s20, s18, 3
	s_and_b32 s18, s19, 0xffff
	s_mul_i32 s19, s20, s15
	s_mov_b32 s15, 0
.LBB8_4:                                ; =>This Inner Loop Header: Depth=1
	v_add_nc_u32_e32 v3, s19, v2
	v_add_nc_u32_e32 v5, s14, v2
	;; [unrolled: 1-line block ×3, first 2 shown]
	s_delay_alu instid0(VALU_DEP_3) | instskip(NEXT) | instid1(VALU_DEP_3)
	v_ashrrev_i32_e32 v4, 31, v3
	v_ashrrev_i32_e32 v6, 31, v5
	s_delay_alu instid0(VALU_DEP_2) | instskip(NEXT) | instid1(VALU_DEP_2)
	v_lshlrev_b64 v[3:4], 4, v[3:4]
	v_lshlrev_b64 v[5:6], 4, v[5:6]
	s_delay_alu instid0(VALU_DEP_2) | instskip(NEXT) | instid1(VALU_DEP_3)
	v_add_co_u32 v3, vcc_lo, s12, v3
	v_add_co_ci_u32_e32 v4, vcc_lo, s13, v4, vcc_lo
	s_delay_alu instid0(VALU_DEP_3) | instskip(NEXT) | instid1(VALU_DEP_4)
	v_add_co_u32 v11, vcc_lo, s8, v5
	v_add_co_ci_u32_e32 v12, vcc_lo, s9, v6, vcc_lo
	global_load_b128 v[3:6], v[3:4], off
	global_load_b128 v[7:10], v[11:12], off
	v_cmp_le_i32_e32 vcc_lo, s3, v2
	s_or_b32 s15, vcc_lo, s15
	s_waitcnt vmcnt(0)
	v_pk_add_f16 v3, v3, v7
	v_pk_add_f16 v4, v4, v8
	;; [unrolled: 1-line block ×4, first 2 shown]
	s_delay_alu instid0(VALU_DEP_4) | instskip(NEXT) | instid1(VALU_DEP_4)
	v_lshrrev_b32_e32 v7, 16, v3
	v_lshrrev_b32_e32 v8, 16, v4
	s_delay_alu instid0(VALU_DEP_4) | instskip(NEXT) | instid1(VALU_DEP_4)
	v_lshrrev_b32_e32 v9, 16, v5
	v_lshrrev_b32_e32 v10, 16, v6
	global_store_b128 v[11:12], v[3:6], off
	v_cvt_f32_f16_e32 v7, v7
	v_cvt_f32_f16_e32 v8, v8
	;; [unrolled: 1-line block ×4, first 2 shown]
	s_delay_alu instid0(VALU_DEP_3) | instskip(NEXT) | instid1(VALU_DEP_2)
	v_dual_mul_f32 v7, v7, v7 :: v_dual_mul_f32 v8, v8, v8
	v_dual_mul_f32 v9, v9, v9 :: v_dual_mul_f32 v10, v10, v10
	s_delay_alu instid0(VALU_DEP_2) | instskip(NEXT) | instid1(VALU_DEP_3)
	v_fma_mix_f32 v7, v3, v3, v7 op_sel_hi:[1,1,0]
	v_fma_mix_f32 v8, v4, v4, v8 op_sel_hi:[1,1,0]
	s_delay_alu instid0(VALU_DEP_3) | instskip(NEXT) | instid1(VALU_DEP_2)
	v_fma_mix_f32 v9, v5, v5, v9 op_sel_hi:[1,1,0]
	v_add_f32_e32 v7, v7, v8
	v_fma_mix_f32 v8, v6, v6, v10 op_sel_hi:[1,1,0]
	s_delay_alu instid0(VALU_DEP_2) | instskip(NEXT) | instid1(VALU_DEP_1)
	v_add_f32_e32 v7, v7, v9
	v_add_f32_e32 v7, v7, v8
	s_delay_alu instid0(VALU_DEP_1)
	v_add_f32_e32 v1, v1, v7
	s_and_not1_b32 exec_lo, exec_lo, s15
	s_cbranch_execnz .LBB8_4
; %bb.5:
	s_or_b32 exec_lo, exec_lo, s15
	v_mov_b32_e32 v9, s18
.LBB8_6:
	s_or_b32 exec_lo, exec_lo, s17
	v_mbcnt_lo_u32_b32 v2, -1, 0
	s_mov_b32 s12, exec_lo
	s_delay_alu instid0(VALU_DEP_1) | instskip(SKIP_2) | instid1(VALU_DEP_2)
	v_cmp_ne_u32_e32 vcc_lo, 31, v2
	v_add_co_ci_u32_e32 v3, vcc_lo, 0, v2, vcc_lo
	v_cmp_gt_u32_e32 vcc_lo, 30, v2
	v_lshlrev_b32_e32 v3, 2, v3
	v_cndmask_b32_e64 v6, 0, 1, vcc_lo
	ds_bpermute_b32 v5, v3, v1
	s_waitcnt lgkmcnt(0)
	v_dual_add_f32 v7, v1, v5 :: v_dual_and_b32 v4, 0x3e0, v0
	s_delay_alu instid0(VALU_DEP_1) | instskip(SKIP_1) | instid1(VALU_DEP_1)
	v_sub_nc_u32_e64 v13, v9, v4 clamp
	v_add_nc_u32_e32 v4, 1, v2
	v_cmp_lt_u32_e32 vcc_lo, v4, v13
	s_delay_alu instid0(VALU_DEP_4) | instskip(NEXT) | instid1(VALU_DEP_1)
	v_dual_cndmask_b32 v7, v1, v7 :: v_dual_lshlrev_b32 v6, 1, v6
	v_add_lshl_u32 v5, v6, v2, 2
	v_cmp_gt_u32_e32 vcc_lo, 28, v2
	ds_bpermute_b32 v6, v5, v7
	v_cndmask_b32_e64 v1, 0, 1, vcc_lo
	s_delay_alu instid0(VALU_DEP_1) | instskip(SKIP_1) | instid1(VALU_DEP_1)
	v_lshlrev_b32_e32 v8, 2, v1
	v_add_nc_u32_e32 v1, 2, v2
	v_cmp_lt_u32_e32 vcc_lo, v1, v13
	s_waitcnt lgkmcnt(0)
	v_add_f32_e32 v10, v7, v6
	v_add_lshl_u32 v6, v8, v2, 2
	s_delay_alu instid0(VALU_DEP_2) | instskip(SKIP_2) | instid1(VALU_DEP_1)
	v_cndmask_b32_e32 v10, v7, v10, vcc_lo
	v_cmp_gt_u32_e32 vcc_lo, 24, v2
	v_cndmask_b32_e64 v7, 0, 1, vcc_lo
	v_lshlrev_b32_e32 v11, 3, v7
	ds_bpermute_b32 v8, v6, v10
	s_waitcnt lgkmcnt(0)
	v_dual_add_f32 v12, v10, v8 :: v_dual_add_nc_u32 v7, 4, v2
	v_add_lshl_u32 v8, v11, v2, 2
	s_delay_alu instid0(VALU_DEP_2) | instskip(NEXT) | instid1(VALU_DEP_3)
	v_cmp_lt_u32_e32 vcc_lo, v7, v13
	v_cndmask_b32_e32 v12, v10, v12, vcc_lo
	v_cmp_gt_u32_e32 vcc_lo, 16, v2
	ds_bpermute_b32 v11, v8, v12
	v_cndmask_b32_e64 v10, 0, 1, vcc_lo
	s_delay_alu instid0(VALU_DEP_1) | instskip(SKIP_1) | instid1(VALU_DEP_1)
	v_lshlrev_b32_e32 v14, 4, v10
	v_add_nc_u32_e32 v10, 8, v2
	v_cmp_lt_u32_e32 vcc_lo, v10, v13
	s_waitcnt lgkmcnt(0)
	v_add_f32_e32 v15, v12, v11
	v_add_lshl_u32 v11, v14, v2, 2
	s_delay_alu instid0(VALU_DEP_2)
	v_cndmask_b32_e32 v14, v12, v15, vcc_lo
	v_add_nc_u32_e32 v12, 16, v2
	ds_bpermute_b32 v15, v11, v14
	v_cmp_lt_u32_e32 vcc_lo, v12, v13
	s_waitcnt lgkmcnt(0)
	v_add_f32_e32 v15, v14, v15
	s_delay_alu instid0(VALU_DEP_1)
	v_cndmask_b32_e32 v13, v14, v15, vcc_lo
	v_cmpx_eq_u32_e32 0, v2
	s_cbranch_execz .LBB8_8
; %bb.7:
	v_lshrrev_b32_e32 v14, 3, v0
	s_delay_alu instid0(VALU_DEP_1)
	v_and_b32_e32 v14, 0x7c, v14
	ds_store_b32 v14, v13
.LBB8_8:
	s_or_b32 exec_lo, exec_lo, s12
	s_delay_alu instid0(SALU_CYCLE_1)
	s_mov_b32 s12, exec_lo
	s_waitcnt lgkmcnt(0)
	s_waitcnt_vscnt null, 0x0
	s_barrier
	buffer_gl0_inv
	v_cmpx_gt_u32_e32 32, v0
	s_cbranch_execz .LBB8_10
; %bb.9:
	v_lshlrev_b32_e32 v2, 2, v2
	ds_load_b32 v2, v2
	s_waitcnt lgkmcnt(0)
	ds_bpermute_b32 v3, v3, v2
	s_waitcnt lgkmcnt(0)
	v_add_f32_e32 v3, v2, v3
	v_add_nc_u32_e32 v13, 31, v9
	s_delay_alu instid0(VALU_DEP_1) | instskip(NEXT) | instid1(VALU_DEP_1)
	v_lshrrev_b32_e32 v13, 5, v13
	v_cmp_lt_u32_e32 vcc_lo, v4, v13
	s_delay_alu instid0(VALU_DEP_4) | instskip(SKIP_4) | instid1(VALU_DEP_1)
	v_cndmask_b32_e32 v2, v2, v3, vcc_lo
	v_cmp_lt_u32_e32 vcc_lo, v1, v13
	ds_bpermute_b32 v3, v5, v2
	s_waitcnt lgkmcnt(0)
	v_add_f32_e32 v3, v2, v3
	v_cndmask_b32_e32 v1, v2, v3, vcc_lo
	v_cmp_lt_u32_e32 vcc_lo, v7, v13
	ds_bpermute_b32 v2, v6, v1
	s_waitcnt lgkmcnt(0)
	v_add_f32_e32 v2, v1, v2
	s_delay_alu instid0(VALU_DEP_1) | instskip(SKIP_4) | instid1(VALU_DEP_1)
	v_cndmask_b32_e32 v1, v1, v2, vcc_lo
	v_cmp_lt_u32_e32 vcc_lo, v10, v13
	ds_bpermute_b32 v2, v8, v1
	s_waitcnt lgkmcnt(0)
	v_add_f32_e32 v2, v1, v2
	v_cndmask_b32_e32 v1, v1, v2, vcc_lo
	v_cmp_lt_u32_e32 vcc_lo, v12, v13
	ds_bpermute_b32 v2, v11, v1
	s_waitcnt lgkmcnt(0)
	v_add_f32_e32 v2, v1, v2
	s_delay_alu instid0(VALU_DEP_1)
	v_cndmask_b32_e32 v13, v1, v2, vcc_lo
.LBB8_10:
	s_or_b32 exec_lo, exec_lo, s12
	s_delay_alu instid0(SALU_CYCLE_1)
	s_mov_b32 s12, exec_lo
	v_cmpx_eq_u32_e32 0, v0
	s_cbranch_execz .LBB8_12
; %bb.11:
	v_cvt_f32_i32_e32 v1, s16
	s_load_b32 s0, s[0:1], 0x30
	s_delay_alu instid0(VALU_DEP_1) | instskip(SKIP_1) | instid1(VALU_DEP_2)
	v_div_scale_f32 v2, null, v1, v1, v13
	v_div_scale_f32 v5, vcc_lo, v13, v1, v13
	v_rcp_f32_e32 v3, v2
	s_waitcnt_depctr 0xfff
	v_fma_f32 v4, -v2, v3, 1.0
	s_delay_alu instid0(VALU_DEP_1) | instskip(NEXT) | instid1(VALU_DEP_1)
	v_fmac_f32_e32 v3, v4, v3
	v_mul_f32_e32 v4, v5, v3
	s_delay_alu instid0(VALU_DEP_1) | instskip(NEXT) | instid1(VALU_DEP_1)
	v_fma_f32 v6, -v2, v4, v5
	v_fmac_f32_e32 v4, v6, v3
	s_delay_alu instid0(VALU_DEP_1) | instskip(NEXT) | instid1(VALU_DEP_1)
	v_fma_f32 v2, -v2, v4, v5
	v_div_fmas_f32 v2, v2, v3, v4
	s_delay_alu instid0(VALU_DEP_1) | instskip(SKIP_1) | instid1(VALU_DEP_1)
	v_div_fixup_f32 v1, v2, v1, v13
	s_waitcnt lgkmcnt(0)
	v_add_f32_e32 v1, s0, v1
	s_delay_alu instid0(VALU_DEP_1) | instskip(SKIP_1) | instid1(VALU_DEP_2)
	v_mul_f32_e32 v2, 0x4b800000, v1
	v_cmp_gt_f32_e32 vcc_lo, 0x800000, v1
	v_cndmask_b32_e32 v1, v1, v2, vcc_lo
	s_delay_alu instid0(VALU_DEP_1) | instskip(SKIP_2) | instid1(VALU_DEP_1)
	v_rsq_f32_e32 v1, v1
	s_waitcnt_depctr 0xfff
	v_mul_f32_e32 v2, 0x45800000, v1
	v_dual_cndmask_b32 v1, v1, v2 :: v_dual_mov_b32 v2, 0
	ds_store_b32 v2, v1 offset:128
.LBB8_12:
	s_or_b32 exec_lo, exec_lo, s12
	s_waitcnt lgkmcnt(0)
	s_barrier
	buffer_gl0_inv
	s_and_saveexec_b32 s0, s2
	s_cbranch_execz .LBB8_143
; %bb.13:
	s_load_b32 s0, s[6:7], 0x0
	v_add_lshl_u32 v20, v0, s14, 3
	v_lshlrev_b32_e32 v21, 3, v9
	s_mov_b32 s2, 0
	v_mov_b32_e32 v11, 0
	ds_load_b32 v22, v11 offset:128
	v_mov_b32_e32 v10, v11
	s_delay_alu instid0(VALU_DEP_1) | instskip(SKIP_3) | instid1(VALU_DEP_2)
	v_lshlrev_b64 v[12:13], 4, v[9:10]
	s_waitcnt lgkmcnt(0)
	v_div_scale_f32 v1, null, s0, s0, 1.0
	v_div_scale_f32 v4, vcc_lo, 1.0, s0, 1.0
	v_rcp_f32_e32 v2, v1
	s_waitcnt_depctr 0xfff
	v_fma_f32 v3, -v1, v2, 1.0
	s_delay_alu instid0(VALU_DEP_1) | instskip(NEXT) | instid1(VALU_DEP_1)
	v_fmac_f32_e32 v2, v3, v2
	v_mul_f32_e32 v3, v4, v2
	s_delay_alu instid0(VALU_DEP_1) | instskip(NEXT) | instid1(VALU_DEP_1)
	v_fma_f32 v5, -v1, v3, v4
	v_fmac_f32_e32 v3, v5, v2
	s_delay_alu instid0(VALU_DEP_1) | instskip(SKIP_1) | instid1(VALU_DEP_2)
	v_fma_f32 v1, -v1, v3, v4
	v_lshlrev_b32_e32 v4, 4, v0
	v_div_fmas_f32 v1, v1, v2, v3
	s_delay_alu instid0(VALU_DEP_2) | instskip(NEXT) | instid1(VALU_DEP_1)
	v_add_co_u32 v2, s1, v4, s4
	v_add_co_ci_u32_e64 v3, null, 0, s5, s1
	s_delay_alu instid0(VALU_DEP_3) | instskip(NEXT) | instid1(VALU_DEP_3)
	v_div_fixup_f32 v23, v1, s0, 1.0
	v_add_co_u32 v14, vcc_lo, v2, 8
	s_delay_alu instid0(VALU_DEP_3)
	v_add_co_ci_u32_e32 v15, vcc_lo, 0, v3, vcc_lo
	s_mov_b32 s4, 0x43e00000
	s_branch .LBB8_15
.LBB8_14:                               ;   in Loop: Header=BB8_15 Depth=1
	s_or_b32 exec_lo, exec_lo, s0
	v_add_nc_u32_e32 v0, v0, v9
	v_add_co_u32 v14, s0, v14, v12
	v_add_nc_u32_e32 v20, v20, v21
	v_add_co_ci_u32_e64 v15, s0, v15, v13, s0
	s_delay_alu instid0(VALU_DEP_4) | instskip(SKIP_2) | instid1(SALU_CYCLE_1)
	v_cmp_le_i32_e32 vcc_lo, s3, v0
	global_store_b8 v[16:17], v2, off offset:7
	s_or_b32 s2, vcc_lo, s2
	s_and_not1_b32 exec_lo, exec_lo, s2
	s_cbranch_execz .LBB8_143
.LBB8_15:                               ; =>This Inner Loop Header: Depth=1
	v_add_nc_u32_e32 v1, s14, v0
	s_delay_alu instid0(VALU_DEP_1) | instskip(NEXT) | instid1(VALU_DEP_1)
	v_ashrrev_i32_e32 v2, 31, v1
	v_lshlrev_b64 v[1:2], 4, v[1:2]
	s_delay_alu instid0(VALU_DEP_1) | instskip(NEXT) | instid1(VALU_DEP_2)
	v_add_co_u32 v1, vcc_lo, s8, v1
	v_add_co_ci_u32_e32 v2, vcc_lo, s9, v2, vcc_lo
	global_load_b128 v[1:4], v[1:2], off
	global_load_b128 v[5:8], v[14:15], off offset:-8
	s_waitcnt vmcnt(1)
	v_fma_mixlo_f16 v10, v22, v1, 0 op_sel_hi:[0,1,0]
	s_delay_alu instid0(VALU_DEP_1) | instskip(SKIP_1) | instid1(VALU_DEP_1)
	v_fma_mixhi_f16 v10, v22, v1, 0 op_sel:[0,1,0] op_sel_hi:[0,1,0]
	s_waitcnt vmcnt(0)
	v_pk_mul_f16 v1, v10, v5
	s_delay_alu instid0(VALU_DEP_1) | instskip(NEXT) | instid1(VALU_DEP_1)
	v_cvt_f32_f16_e32 v5, v1
	v_mul_f32_e32 v5, v23, v5
	s_delay_alu instid0(VALU_DEP_1) | instskip(NEXT) | instid1(VALU_DEP_1)
	v_minmax_f32 v16, v5, s4, 0xc3e00000
	v_dual_mov_b32 v19, v11 :: v_dual_and_b32 v10, 0x7fffff, v16
	v_lshrrev_b32_e32 v17, 24, v16
	v_and_b32_e32 v18, 0x7f800000, v16
	s_delay_alu instid0(VALU_DEP_2) | instskip(NEXT) | instid1(VALU_DEP_2)
	v_and_b32_e32 v5, 0x80, v17
	v_cmp_ne_u64_e32 vcc_lo, 0x7f800000, v[18:19]
	s_delay_alu instid0(VALU_DEP_2) | instskip(SKIP_1) | instid1(SALU_CYCLE_1)
	v_or_b32_e32 v18, 0x7e, v5
	s_and_saveexec_b32 s0, vcc_lo
	s_xor_b32 s5, exec_lo, s0
	s_cbranch_execz .LBB8_29
; %bb.16:                               ;   in Loop: Header=BB8_15 Depth=1
	v_dual_mov_b32 v25, v11 :: v_dual_and_b32 v24, 0x7fffffff, v16
	s_mov_b32 s0, exec_lo
	s_delay_alu instid0(VALU_DEP_1)
	v_cmpx_gt_u64_e32 0x43e00001, v[24:25]
	s_xor_b32 s6, exec_lo, s0
	s_cbranch_execz .LBB8_28
; %bb.17:                               ;   in Loop: Header=BB8_15 Depth=1
	v_mov_b32_e32 v18, 0
	s_mov_b32 s7, exec_lo
	v_cmpx_ne_u32_e32 0, v16
	s_cbranch_execz .LBB8_27
; %bb.18:                               ;   in Loop: Header=BB8_15 Depth=1
	v_bfe_u32 v26, v16, 23, 8
	s_delay_alu instid0(VALU_DEP_1) | instskip(SKIP_2) | instid1(VALU_DEP_3)
	v_sub_nc_u32_e64 v16, 0x79, v26 clamp
	v_cmp_eq_u32_e32 vcc_lo, 0, v26
	v_add_nc_u32_e32 v26, 0xffffff88, v26
	v_cndmask_b32_e64 v27, v16, 0x78, vcc_lo
	v_or_b32_e32 v16, 0x800000, v10
	s_delay_alu instid0(VALU_DEP_1) | instskip(SKIP_1) | instid1(VALU_DEP_2)
	v_dual_cndmask_b32 v10, v16, v10 :: v_dual_add_nc_u32 v17, 20, v27
	v_add_nc_u32_e32 v18, 19, v27
	v_lshlrev_b64 v[16:17], v17, -1
	s_delay_alu instid0(VALU_DEP_3) | instskip(NEXT) | instid1(VALU_DEP_2)
	v_lshrrev_b64 v[24:25], v27, v[10:11]
	v_not_b32_e32 v19, v17
	s_delay_alu instid0(VALU_DEP_3) | instskip(SKIP_1) | instid1(VALU_DEP_3)
	v_not_b32_e32 v28, v16
	v_lshlrev_b64 v[16:17], v18, 1
	v_and_b32_e32 v19, 0, v19
	s_delay_alu instid0(VALU_DEP_3) | instskip(SKIP_1) | instid1(VALU_DEP_2)
	v_and_b32_e32 v18, v10, v28
	v_and_b32_e32 v10, 0x100000, v24
	v_cmp_eq_u64_e64 s0, v[18:19], v[16:17]
	s_delay_alu instid0(VALU_DEP_2) | instskip(SKIP_2) | instid1(VALU_DEP_3)
	v_cmp_eq_u64_e64 s1, 0, v[10:11]
	v_cndmask_b32_e64 v10, v26, 0xffffff89, vcc_lo
	v_lshrrev_b32_e32 v16, 23, v24
	s_and_b32 vcc_lo, s1, s0
	s_delay_alu instid0(VALU_DEP_1) | instskip(SKIP_2) | instid1(VALU_DEP_2)
	v_add3_u32 v18, v10, v27, v16
	v_subrev_co_ci_u32_e32 v17, vcc_lo, 0, v24, vcc_lo
	s_mov_b32 s0, exec_lo
	v_add_nc_u32_e32 v19, -1, v18
	s_delay_alu instid0(VALU_DEP_2) | instskip(NEXT) | instid1(VALU_DEP_1)
	v_and_b32_e32 v10, 0xfffff, v17
	v_add_co_u32 v16, vcc_lo, v10, v24
	v_add_co_ci_u32_e32 v17, vcc_lo, 0, v25, vcc_lo
                                        ; implicit-def: $vgpr10
	s_delay_alu instid0(VALU_DEP_4)
	v_cmpx_ne_u32_e32 0, v19
	s_xor_b32 s0, exec_lo, s0
; %bb.19:                               ;   in Loop: Header=BB8_15 Depth=1
	s_delay_alu instid0(VALU_DEP_3) | instskip(SKIP_1) | instid1(VALU_DEP_2)
	v_and_b32_e32 v10, 0x1000000, v16
	v_bfe_u32 v24, v16, 24, 1
	v_cmp_eq_u64_e32 vcc_lo, 0, v[10:11]
	s_delay_alu instid0(VALU_DEP_2)
	v_lshrrev_b64 v[16:17], v24, v[16:17]
	v_cndmask_b32_e32 v10, v18, v19, vcc_lo
; %bb.20:                               ;   in Loop: Header=BB8_15 Depth=1
	s_and_not1_saveexec_b32 s0, s0
; %bb.21:                               ;   in Loop: Header=BB8_15 Depth=1
	s_delay_alu instid0(VALU_DEP_2)
	v_bfe_u32 v10, v16, 23, 1
; %bb.22:                               ;   in Loop: Header=BB8_15 Depth=1
	s_or_b32 exec_lo, exec_lo, s0
	s_delay_alu instid0(VALU_DEP_3) | instskip(NEXT) | instid1(VALU_DEP_2)
	v_lshrrev_b64 v[16:17], 20, v[16:17]
	v_cmp_gt_i32_e32 vcc_lo, 16, v10
	v_cmp_ne_u32_e64 s0, 0, v10
                                        ; implicit-def: $vgpr18
	s_delay_alu instid0(VALU_DEP_3) | instskip(NEXT) | instid1(VALU_DEP_1)
	v_dual_cndmask_b32 v17, 0, v17 :: v_dual_cndmask_b32 v16, 7, v16
	v_cmp_ne_u64_e32 vcc_lo, 0, v[16:17]
	s_delay_alu instid0(VALU_DEP_3) | instskip(NEXT) | instid1(SALU_CYCLE_1)
	s_or_b32 s0, s0, vcc_lo
	s_and_saveexec_b32 s1, s0
	s_delay_alu instid0(SALU_CYCLE_1)
	s_xor_b32 s0, exec_lo, s1
; %bb.23:                               ;   in Loop: Header=BB8_15 Depth=1
	v_min_i32_e32 v10, 15, v10
	s_delay_alu instid0(VALU_DEP_1) | instskip(NEXT) | instid1(VALU_DEP_1)
	v_lshl_or_b32 v5, v10, 3, v5
	v_and_or_b32 v18, v16, 7, v5
                                        ; implicit-def: $vgpr5
; %bb.24:                               ;   in Loop: Header=BB8_15 Depth=1
	s_and_not1_saveexec_b32 s0, s0
; %bb.25:                               ;   in Loop: Header=BB8_15 Depth=1
	v_mov_b32_e32 v18, v5
; %bb.26:                               ;   in Loop: Header=BB8_15 Depth=1
	s_or_b32 exec_lo, exec_lo, s0
.LBB8_27:                               ;   in Loop: Header=BB8_15 Depth=1
	s_delay_alu instid0(SALU_CYCLE_1)
	s_or_b32 exec_lo, exec_lo, s7
.LBB8_28:                               ;   in Loop: Header=BB8_15 Depth=1
	s_and_not1_saveexec_b32 s0, s6
	s_delay_alu instid0(SALU_CYCLE_1)
	s_or_b32 exec_lo, exec_lo, s0
                                        ; implicit-def: $vgpr17
.LBB8_29:                               ;   in Loop: Header=BB8_15 Depth=1
	s_and_not1_saveexec_b32 s0, s5
; %bb.30:                               ;   in Loop: Header=BB8_15 Depth=1
	v_cmp_eq_u64_e32 vcc_lo, 0, v[10:11]
	v_or_b32_e32 v5, 0x7f, v17
	s_delay_alu instid0(VALU_DEP_1)
	v_cndmask_b32_e32 v18, v5, v18, vcc_lo
; %bb.31:                               ;   in Loop: Header=BB8_15 Depth=1
	s_or_b32 exec_lo, exec_lo, s0
	v_lshrrev_b32_e32 v1, 16, v1
	v_ashrrev_i32_e32 v10, 31, v20
	v_add_co_u32 v16, vcc_lo, s10, v20
	s_mov_b32 s0, exec_lo
	s_delay_alu instid0(VALU_DEP_3) | instskip(NEXT) | instid1(VALU_DEP_3)
	v_cvt_f32_f16_e32 v1, v1
	v_add_co_ci_u32_e32 v17, vcc_lo, s11, v10, vcc_lo
	s_delay_alu instid0(VALU_DEP_2) | instskip(SKIP_2) | instid1(VALU_DEP_1)
	v_mul_f32_e32 v1, v23, v1
	global_store_b8 v[16:17], v18, off
	v_minmax_f32 v5, v1, s4, 0xc3e00000
	v_dual_mov_b32 v26, v11 :: v_dual_and_b32 v25, 0x7f800000, v5
	v_lshrrev_b32_e32 v24, 24, v5
	v_and_b32_e32 v10, 0x7fffff, v5
	s_delay_alu instid0(VALU_DEP_2) | instskip(NEXT) | instid1(VALU_DEP_1)
	v_and_b32_e32 v1, 0x80, v24
	v_or_b32_e32 v19, 0x7e, v1
	v_cmpx_ne_u64_e32 0x7f800000, v[25:26]
	s_xor_b32 s5, exec_lo, s0
	s_cbranch_execz .LBB8_45
; %bb.32:                               ;   in Loop: Header=BB8_15 Depth=1
	v_dual_mov_b32 v25, v11 :: v_dual_and_b32 v24, 0x7fffffff, v5
	s_mov_b32 s0, exec_lo
	s_delay_alu instid0(VALU_DEP_1)
	v_cmpx_gt_u64_e32 0x43e00001, v[24:25]
	s_xor_b32 s6, exec_lo, s0
	s_cbranch_execz .LBB8_44
; %bb.33:                               ;   in Loop: Header=BB8_15 Depth=1
	v_mov_b32_e32 v19, 0
	s_mov_b32 s7, exec_lo
	v_cmpx_ne_u32_e32 0, v5
	s_cbranch_execz .LBB8_43
; %bb.34:                               ;   in Loop: Header=BB8_15 Depth=1
	v_bfe_u32 v5, v5, 23, 8
	s_delay_alu instid0(VALU_DEP_1) | instskip(SKIP_2) | instid1(VALU_DEP_3)
	v_sub_nc_u32_e64 v18, 0x79, v5 clamp
	v_cmp_eq_u32_e32 vcc_lo, 0, v5
	v_add_nc_u32_e32 v5, 0xffffff88, v5
	v_cndmask_b32_e64 v28, v18, 0x78, vcc_lo
	v_or_b32_e32 v18, 0x800000, v10
	s_delay_alu instid0(VALU_DEP_3) | instskip(NEXT) | instid1(VALU_DEP_2)
	v_cndmask_b32_e64 v5, v5, 0xffffff89, vcc_lo
	v_dual_cndmask_b32 v10, v18, v10 :: v_dual_add_nc_u32 v19, 20, v28
	v_add_nc_u32_e32 v24, 19, v28
	s_delay_alu instid0(VALU_DEP_2) | instskip(NEXT) | instid1(VALU_DEP_3)
	v_lshlrev_b64 v[18:19], v19, -1
	v_lshrrev_b64 v[26:27], v28, v[10:11]
	s_delay_alu instid0(VALU_DEP_2) | instskip(NEXT) | instid1(VALU_DEP_3)
	v_not_b32_e32 v25, v19
	v_not_b32_e32 v29, v18
	v_lshlrev_b64 v[18:19], v24, 1
	s_delay_alu instid0(VALU_DEP_3) | instskip(NEXT) | instid1(VALU_DEP_3)
	v_and_b32_e32 v25, 0, v25
	v_and_b32_e32 v24, v10, v29
	;; [unrolled: 1-line block ×3, first 2 shown]
	s_delay_alu instid0(VALU_DEP_2) | instskip(NEXT) | instid1(VALU_DEP_2)
	v_cmp_eq_u64_e64 s0, v[24:25], v[18:19]
	v_cmp_eq_u64_e64 s1, 0, v[10:11]
	v_lshrrev_b32_e32 v10, 23, v26
	s_delay_alu instid0(VALU_DEP_1) | instskip(NEXT) | instid1(VALU_DEP_3)
	v_add3_u32 v24, v5, v28, v10
	s_and_b32 vcc_lo, s1, s0
	s_mov_b32 s0, exec_lo
	v_subrev_co_ci_u32_e32 v18, vcc_lo, 0, v26, vcc_lo
	s_delay_alu instid0(VALU_DEP_2) | instskip(NEXT) | instid1(VALU_DEP_2)
	v_add_nc_u32_e32 v25, -1, v24
	v_and_b32_e32 v5, 0xfffff, v18
	s_delay_alu instid0(VALU_DEP_1) | instskip(SKIP_1) | instid1(VALU_DEP_4)
	v_add_co_u32 v18, vcc_lo, v5, v26
	v_add_co_ci_u32_e32 v19, vcc_lo, 0, v27, vcc_lo
                                        ; implicit-def: $vgpr5
	v_cmpx_ne_u32_e32 0, v25
	s_xor_b32 s0, exec_lo, s0
; %bb.35:                               ;   in Loop: Header=BB8_15 Depth=1
	s_delay_alu instid0(VALU_DEP_3) | instskip(SKIP_1) | instid1(VALU_DEP_2)
	v_and_b32_e32 v10, 0x1000000, v18
	v_bfe_u32 v5, v18, 24, 1
	v_cmp_eq_u64_e32 vcc_lo, 0, v[10:11]
	s_delay_alu instid0(VALU_DEP_2)
	v_lshrrev_b64 v[18:19], v5, v[18:19]
	v_cndmask_b32_e32 v5, v24, v25, vcc_lo
; %bb.36:                               ;   in Loop: Header=BB8_15 Depth=1
	s_and_not1_saveexec_b32 s0, s0
; %bb.37:                               ;   in Loop: Header=BB8_15 Depth=1
	s_delay_alu instid0(VALU_DEP_2)
	v_bfe_u32 v5, v18, 23, 1
; %bb.38:                               ;   in Loop: Header=BB8_15 Depth=1
	s_or_b32 exec_lo, exec_lo, s0
	s_delay_alu instid0(VALU_DEP_3) | instskip(NEXT) | instid1(VALU_DEP_2)
	v_lshrrev_b64 v[18:19], 20, v[18:19]
	v_cmp_gt_i32_e32 vcc_lo, 16, v5
	v_cmp_ne_u32_e64 s0, 0, v5
	s_delay_alu instid0(VALU_DEP_3) | instskip(NEXT) | instid1(VALU_DEP_1)
	v_dual_cndmask_b32 v19, 0, v19 :: v_dual_cndmask_b32 v18, 7, v18
	v_cmp_ne_u64_e32 vcc_lo, 0, v[18:19]
                                        ; implicit-def: $vgpr19
	s_delay_alu instid0(VALU_DEP_3) | instskip(NEXT) | instid1(SALU_CYCLE_1)
	s_or_b32 s0, s0, vcc_lo
	s_and_saveexec_b32 s1, s0
	s_delay_alu instid0(SALU_CYCLE_1)
	s_xor_b32 s0, exec_lo, s1
; %bb.39:                               ;   in Loop: Header=BB8_15 Depth=1
	v_min_i32_e32 v5, 15, v5
	s_delay_alu instid0(VALU_DEP_1) | instskip(NEXT) | instid1(VALU_DEP_1)
	v_lshl_or_b32 v1, v5, 3, v1
	v_and_or_b32 v19, v18, 7, v1
                                        ; implicit-def: $vgpr1
; %bb.40:                               ;   in Loop: Header=BB8_15 Depth=1
	s_and_not1_saveexec_b32 s0, s0
; %bb.41:                               ;   in Loop: Header=BB8_15 Depth=1
	v_mov_b32_e32 v19, v1
; %bb.42:                               ;   in Loop: Header=BB8_15 Depth=1
	s_or_b32 exec_lo, exec_lo, s0
.LBB8_43:                               ;   in Loop: Header=BB8_15 Depth=1
	s_delay_alu instid0(SALU_CYCLE_1)
	s_or_b32 exec_lo, exec_lo, s7
.LBB8_44:                               ;   in Loop: Header=BB8_15 Depth=1
	s_and_not1_saveexec_b32 s0, s6
	s_delay_alu instid0(SALU_CYCLE_1)
	s_or_b32 exec_lo, exec_lo, s0
                                        ; implicit-def: $vgpr24
.LBB8_45:                               ;   in Loop: Header=BB8_15 Depth=1
	s_and_not1_saveexec_b32 s0, s5
; %bb.46:                               ;   in Loop: Header=BB8_15 Depth=1
	v_cmp_eq_u64_e32 vcc_lo, 0, v[10:11]
	v_or_b32_e32 v1, 0x7f, v24
	s_delay_alu instid0(VALU_DEP_1)
	v_cndmask_b32_e32 v19, v1, v19, vcc_lo
; %bb.47:                               ;   in Loop: Header=BB8_15 Depth=1
	s_or_b32 exec_lo, exec_lo, s0
	v_fma_mixlo_f16 v1, v22, v2, 0 op_sel_hi:[0,1,0]
	global_store_b8 v[16:17], v19, off offset:1
	s_mov_b32 s0, exec_lo
	v_mov_b32_e32 v25, v11
	v_fma_mixhi_f16 v1, v22, v2, 0 op_sel:[0,1,0] op_sel_hi:[0,1,0]
	s_delay_alu instid0(VALU_DEP_1) | instskip(NEXT) | instid1(VALU_DEP_1)
	v_pk_mul_f16 v5, v1, v6
	v_cvt_f32_f16_e32 v1, v5
	s_delay_alu instid0(VALU_DEP_1) | instskip(NEXT) | instid1(VALU_DEP_1)
	v_mul_f32_e32 v1, v23, v1
	v_minmax_f32 v1, v1, s4, 0xc3e00000
	s_delay_alu instid0(VALU_DEP_1) | instskip(SKIP_2) | instid1(VALU_DEP_3)
	v_lshrrev_b32_e32 v2, 24, v1
	v_and_b32_e32 v24, 0x7f800000, v1
	v_and_b32_e32 v10, 0x7fffff, v1
	;; [unrolled: 1-line block ×3, first 2 shown]
	s_delay_alu instid0(VALU_DEP_1) | instskip(NEXT) | instid1(VALU_DEP_4)
	v_or_b32_e32 v18, 0x7e, v6
	v_cmpx_ne_u64_e32 0x7f800000, v[24:25]
	s_xor_b32 s5, exec_lo, s0
	s_cbranch_execz .LBB8_61
; %bb.48:                               ;   in Loop: Header=BB8_15 Depth=1
	v_dual_mov_b32 v25, v11 :: v_dual_and_b32 v24, 0x7fffffff, v1
	s_mov_b32 s0, exec_lo
	s_delay_alu instid0(VALU_DEP_1)
	v_cmpx_gt_u64_e32 0x43e00001, v[24:25]
	s_xor_b32 s6, exec_lo, s0
	s_cbranch_execz .LBB8_60
; %bb.49:                               ;   in Loop: Header=BB8_15 Depth=1
	v_mov_b32_e32 v18, 0
	s_mov_b32 s7, exec_lo
	v_cmpx_ne_u32_e32 0, v1
	s_cbranch_execz .LBB8_59
; %bb.50:                               ;   in Loop: Header=BB8_15 Depth=1
	v_bfe_u32 v26, v1, 23, 8
	s_delay_alu instid0(VALU_DEP_1) | instskip(SKIP_2) | instid1(VALU_DEP_3)
	v_sub_nc_u32_e64 v1, 0x79, v26 clamp
	v_cmp_eq_u32_e32 vcc_lo, 0, v26
	v_add_nc_u32_e32 v26, 0xffffff88, v26
	v_cndmask_b32_e64 v27, v1, 0x78, vcc_lo
	v_or_b32_e32 v1, 0x800000, v10
	s_delay_alu instid0(VALU_DEP_2) | instskip(NEXT) | instid1(VALU_DEP_2)
	v_add_nc_u32_e32 v2, 20, v27
	v_cndmask_b32_e32 v10, v1, v10, vcc_lo
	v_add_nc_u32_e32 v18, 19, v27
	s_delay_alu instid0(VALU_DEP_3) | instskip(NEXT) | instid1(VALU_DEP_1)
	v_lshlrev_b64 v[1:2], v2, -1
	v_not_b32_e32 v19, v2
	s_delay_alu instid0(VALU_DEP_2) | instskip(NEXT) | instid1(VALU_DEP_4)
	v_not_b32_e32 v28, v1
	v_lshlrev_b64 v[1:2], v18, 1
	s_delay_alu instid0(VALU_DEP_3) | instskip(SKIP_1) | instid1(VALU_DEP_4)
	v_and_b32_e32 v19, 0, v19
	v_lshrrev_b64 v[24:25], v27, v[10:11]
	v_and_b32_e32 v18, v10, v28
	s_delay_alu instid0(VALU_DEP_1) | instskip(NEXT) | instid1(VALU_DEP_3)
	v_cmp_eq_u64_e64 s0, v[18:19], v[1:2]
	v_and_b32_e32 v10, 0x100000, v24
	v_cndmask_b32_e64 v1, v26, 0xffffff89, vcc_lo
	v_lshrrev_b32_e32 v2, 23, v24
	s_delay_alu instid0(VALU_DEP_3) | instskip(NEXT) | instid1(VALU_DEP_2)
	v_cmp_eq_u64_e64 s1, 0, v[10:11]
	v_add3_u32 v18, v1, v27, v2
	s_delay_alu instid0(VALU_DEP_2) | instskip(NEXT) | instid1(VALU_DEP_1)
	s_and_b32 vcc_lo, s1, s0
	v_add_nc_u32_e32 v19, -1, v18
	v_subrev_co_ci_u32_e32 v10, vcc_lo, 0, v24, vcc_lo
	s_mov_b32 s0, exec_lo
	s_delay_alu instid0(VALU_DEP_1) | instskip(NEXT) | instid1(VALU_DEP_1)
	v_and_b32_e32 v1, 0xfffff, v10
                                        ; implicit-def: $vgpr10
	v_add_co_u32 v1, vcc_lo, v1, v24
	v_add_co_ci_u32_e32 v2, vcc_lo, 0, v25, vcc_lo
	v_cmpx_ne_u32_e32 0, v19
	s_xor_b32 s0, exec_lo, s0
; %bb.51:                               ;   in Loop: Header=BB8_15 Depth=1
	s_delay_alu instid0(VALU_DEP_3) | instskip(SKIP_1) | instid1(VALU_DEP_2)
	v_and_b32_e32 v10, 0x1000000, v1
	v_bfe_u32 v24, v1, 24, 1
	v_cmp_eq_u64_e32 vcc_lo, 0, v[10:11]
	s_delay_alu instid0(VALU_DEP_2)
	v_lshrrev_b64 v[1:2], v24, v[1:2]
	v_cndmask_b32_e32 v10, v18, v19, vcc_lo
; %bb.52:                               ;   in Loop: Header=BB8_15 Depth=1
	s_and_not1_saveexec_b32 s0, s0
; %bb.53:                               ;   in Loop: Header=BB8_15 Depth=1
	s_delay_alu instid0(VALU_DEP_2)
	v_bfe_u32 v10, v1, 23, 1
; %bb.54:                               ;   in Loop: Header=BB8_15 Depth=1
	s_or_b32 exec_lo, exec_lo, s0
	s_delay_alu instid0(VALU_DEP_3) | instskip(NEXT) | instid1(VALU_DEP_2)
	v_lshrrev_b64 v[1:2], 20, v[1:2]
	v_cmp_gt_i32_e32 vcc_lo, 16, v10
	v_cmp_ne_u32_e64 s0, 0, v10
                                        ; implicit-def: $vgpr18
	s_delay_alu instid0(VALU_DEP_3) | instskip(NEXT) | instid1(VALU_DEP_1)
	v_dual_cndmask_b32 v2, 0, v2 :: v_dual_cndmask_b32 v1, 7, v1
	v_cmp_ne_u64_e32 vcc_lo, 0, v[1:2]
	s_delay_alu instid0(VALU_DEP_3) | instskip(NEXT) | instid1(SALU_CYCLE_1)
	s_or_b32 s0, s0, vcc_lo
	s_and_saveexec_b32 s1, s0
	s_delay_alu instid0(SALU_CYCLE_1)
	s_xor_b32 s0, exec_lo, s1
; %bb.55:                               ;   in Loop: Header=BB8_15 Depth=1
	v_min_i32_e32 v2, 15, v10
	s_delay_alu instid0(VALU_DEP_1) | instskip(NEXT) | instid1(VALU_DEP_1)
	v_lshl_or_b32 v2, v2, 3, v6
                                        ; implicit-def: $vgpr6
	v_and_or_b32 v18, v1, 7, v2
; %bb.56:                               ;   in Loop: Header=BB8_15 Depth=1
	s_and_not1_saveexec_b32 s0, s0
; %bb.57:                               ;   in Loop: Header=BB8_15 Depth=1
	v_mov_b32_e32 v18, v6
; %bb.58:                               ;   in Loop: Header=BB8_15 Depth=1
	s_or_b32 exec_lo, exec_lo, s0
.LBB8_59:                               ;   in Loop: Header=BB8_15 Depth=1
	s_delay_alu instid0(SALU_CYCLE_1)
	s_or_b32 exec_lo, exec_lo, s7
.LBB8_60:                               ;   in Loop: Header=BB8_15 Depth=1
	s_and_not1_saveexec_b32 s0, s6
	s_delay_alu instid0(SALU_CYCLE_1)
	s_or_b32 exec_lo, exec_lo, s0
                                        ; implicit-def: $vgpr2
.LBB8_61:                               ;   in Loop: Header=BB8_15 Depth=1
	s_and_not1_saveexec_b32 s0, s5
; %bb.62:                               ;   in Loop: Header=BB8_15 Depth=1
	v_cmp_eq_u64_e32 vcc_lo, 0, v[10:11]
	v_or_b32_e32 v1, 0x7f, v2
	s_delay_alu instid0(VALU_DEP_1)
	v_cndmask_b32_e32 v18, v1, v18, vcc_lo
; %bb.63:                               ;   in Loop: Header=BB8_15 Depth=1
	s_or_b32 exec_lo, exec_lo, s0
	v_lshrrev_b32_e32 v1, 16, v5
	global_store_b8 v[16:17], v18, off offset:2
	s_mov_b32 s0, exec_lo
	v_mov_b32_e32 v25, v11
	v_cvt_f32_f16_e32 v1, v1
	s_delay_alu instid0(VALU_DEP_1) | instskip(NEXT) | instid1(VALU_DEP_1)
	v_mul_f32_e32 v1, v23, v1
	v_minmax_f32 v1, v1, s4, 0xc3e00000
	s_delay_alu instid0(VALU_DEP_1) | instskip(SKIP_2) | instid1(VALU_DEP_3)
	v_lshrrev_b32_e32 v6, 24, v1
	v_and_b32_e32 v24, 0x7f800000, v1
	v_and_b32_e32 v10, 0x7fffff, v1
	v_and_b32_e32 v5, 0x80, v6
	s_delay_alu instid0(VALU_DEP_1) | instskip(NEXT) | instid1(VALU_DEP_4)
	v_or_b32_e32 v2, 0x7e, v5
	v_cmpx_ne_u64_e32 0x7f800000, v[24:25]
	s_xor_b32 s5, exec_lo, s0
	s_cbranch_execz .LBB8_77
; %bb.64:                               ;   in Loop: Header=BB8_15 Depth=1
	v_dual_mov_b32 v19, v11 :: v_dual_and_b32 v18, 0x7fffffff, v1
	s_mov_b32 s0, exec_lo
	s_delay_alu instid0(VALU_DEP_1)
	v_cmpx_gt_u64_e32 0x43e00001, v[18:19]
	s_xor_b32 s6, exec_lo, s0
	s_cbranch_execz .LBB8_76
; %bb.65:                               ;   in Loop: Header=BB8_15 Depth=1
	v_mov_b32_e32 v2, 0
	s_mov_b32 s7, exec_lo
	v_cmpx_ne_u32_e32 0, v1
	s_cbranch_execz .LBB8_75
; %bb.66:                               ;   in Loop: Header=BB8_15 Depth=1
	v_bfe_u32 v6, v1, 23, 8
	s_delay_alu instid0(VALU_DEP_1) | instskip(SKIP_2) | instid1(VALU_DEP_3)
	v_sub_nc_u32_e64 v1, 0x79, v6 clamp
	v_cmp_eq_u32_e32 vcc_lo, 0, v6
	v_add_nc_u32_e32 v6, 0xffffff88, v6
	v_cndmask_b32_e64 v26, v1, 0x78, vcc_lo
	v_or_b32_e32 v1, 0x800000, v10
	s_delay_alu instid0(VALU_DEP_2) | instskip(NEXT) | instid1(VALU_DEP_2)
	v_add_nc_u32_e32 v2, 20, v26
	v_cndmask_b32_e32 v10, v1, v10, vcc_lo
	v_add_nc_u32_e32 v18, 19, v26
	s_delay_alu instid0(VALU_DEP_3) | instskip(NEXT) | instid1(VALU_DEP_1)
	v_lshlrev_b64 v[1:2], v2, -1
	v_not_b32_e32 v19, v2
	s_delay_alu instid0(VALU_DEP_2) | instskip(NEXT) | instid1(VALU_DEP_4)
	v_not_b32_e32 v27, v1
	v_lshlrev_b64 v[1:2], v18, 1
	s_delay_alu instid0(VALU_DEP_3) | instskip(SKIP_1) | instid1(VALU_DEP_4)
	v_and_b32_e32 v19, 0, v19
	v_lshrrev_b64 v[24:25], v26, v[10:11]
	v_and_b32_e32 v18, v10, v27
	s_delay_alu instid0(VALU_DEP_1) | instskip(NEXT) | instid1(VALU_DEP_3)
	v_cmp_eq_u64_e64 s0, v[18:19], v[1:2]
	v_and_b32_e32 v10, 0x100000, v24
	v_cndmask_b32_e64 v1, v6, 0xffffff89, vcc_lo
	v_lshrrev_b32_e32 v2, 23, v24
	s_delay_alu instid0(VALU_DEP_3) | instskip(NEXT) | instid1(VALU_DEP_2)
	v_cmp_eq_u64_e64 s1, 0, v[10:11]
	v_add3_u32 v18, v1, v26, v2
	s_delay_alu instid0(VALU_DEP_2) | instskip(NEXT) | instid1(VALU_DEP_1)
	s_and_b32 vcc_lo, s1, s0
	v_add_nc_u32_e32 v19, -1, v18
	v_subrev_co_ci_u32_e32 v6, vcc_lo, 0, v24, vcc_lo
	s_mov_b32 s0, exec_lo
	s_delay_alu instid0(VALU_DEP_1) | instskip(NEXT) | instid1(VALU_DEP_1)
	v_and_b32_e32 v1, 0xfffff, v6
                                        ; implicit-def: $vgpr6
	v_add_co_u32 v1, vcc_lo, v1, v24
	v_add_co_ci_u32_e32 v2, vcc_lo, 0, v25, vcc_lo
	v_cmpx_ne_u32_e32 0, v19
	s_xor_b32 s0, exec_lo, s0
; %bb.67:                               ;   in Loop: Header=BB8_15 Depth=1
	s_delay_alu instid0(VALU_DEP_3) | instskip(SKIP_1) | instid1(VALU_DEP_2)
	v_and_b32_e32 v10, 0x1000000, v1
	v_bfe_u32 v6, v1, 24, 1
	v_cmp_eq_u64_e32 vcc_lo, 0, v[10:11]
	s_delay_alu instid0(VALU_DEP_2)
	v_lshrrev_b64 v[1:2], v6, v[1:2]
	v_cndmask_b32_e32 v6, v18, v19, vcc_lo
; %bb.68:                               ;   in Loop: Header=BB8_15 Depth=1
	s_and_not1_saveexec_b32 s0, s0
; %bb.69:                               ;   in Loop: Header=BB8_15 Depth=1
	s_delay_alu instid0(VALU_DEP_2)
	v_bfe_u32 v6, v1, 23, 1
; %bb.70:                               ;   in Loop: Header=BB8_15 Depth=1
	s_or_b32 exec_lo, exec_lo, s0
	s_delay_alu instid0(VALU_DEP_3) | instskip(NEXT) | instid1(VALU_DEP_2)
	v_lshrrev_b64 v[1:2], 20, v[1:2]
	v_cmp_gt_i32_e32 vcc_lo, 16, v6
	v_cmp_ne_u32_e64 s0, 0, v6
	s_delay_alu instid0(VALU_DEP_3) | instskip(NEXT) | instid1(VALU_DEP_1)
	v_dual_cndmask_b32 v2, 0, v2 :: v_dual_cndmask_b32 v1, 7, v1
	v_cmp_ne_u64_e32 vcc_lo, 0, v[1:2]
                                        ; implicit-def: $vgpr2
	s_delay_alu instid0(VALU_DEP_3) | instskip(NEXT) | instid1(SALU_CYCLE_1)
	s_or_b32 s0, s0, vcc_lo
	s_and_saveexec_b32 s1, s0
	s_delay_alu instid0(SALU_CYCLE_1)
	s_xor_b32 s0, exec_lo, s1
; %bb.71:                               ;   in Loop: Header=BB8_15 Depth=1
	v_min_i32_e32 v2, 15, v6
	s_delay_alu instid0(VALU_DEP_1) | instskip(NEXT) | instid1(VALU_DEP_1)
	v_lshl_or_b32 v2, v2, 3, v5
                                        ; implicit-def: $vgpr5
	v_and_or_b32 v2, v1, 7, v2
; %bb.72:                               ;   in Loop: Header=BB8_15 Depth=1
	s_and_not1_saveexec_b32 s0, s0
; %bb.73:                               ;   in Loop: Header=BB8_15 Depth=1
	v_mov_b32_e32 v2, v5
; %bb.74:                               ;   in Loop: Header=BB8_15 Depth=1
	s_or_b32 exec_lo, exec_lo, s0
.LBB8_75:                               ;   in Loop: Header=BB8_15 Depth=1
	s_delay_alu instid0(SALU_CYCLE_1)
	s_or_b32 exec_lo, exec_lo, s7
.LBB8_76:                               ;   in Loop: Header=BB8_15 Depth=1
	s_and_not1_saveexec_b32 s0, s6
	s_delay_alu instid0(SALU_CYCLE_1)
	s_or_b32 exec_lo, exec_lo, s0
                                        ; implicit-def: $vgpr6
.LBB8_77:                               ;   in Loop: Header=BB8_15 Depth=1
	s_and_not1_saveexec_b32 s0, s5
; %bb.78:                               ;   in Loop: Header=BB8_15 Depth=1
	v_cmp_eq_u64_e32 vcc_lo, 0, v[10:11]
	v_or_b32_e32 v1, 0x7f, v6
	s_delay_alu instid0(VALU_DEP_1)
	v_cndmask_b32_e32 v2, v1, v2, vcc_lo
; %bb.79:                               ;   in Loop: Header=BB8_15 Depth=1
	s_or_b32 exec_lo, exec_lo, s0
	v_fma_mixlo_f16 v1, v22, v3, 0 op_sel_hi:[0,1,0]
	global_store_b8 v[16:17], v2, off offset:3
	s_mov_b32 s0, exec_lo
	v_mov_b32_e32 v19, v11
	v_fma_mixhi_f16 v1, v22, v3, 0 op_sel:[0,1,0] op_sel_hi:[0,1,0]
	s_delay_alu instid0(VALU_DEP_1) | instskip(NEXT) | instid1(VALU_DEP_1)
	v_pk_mul_f16 v3, v1, v7
	v_cvt_f32_f16_e32 v1, v3
	s_delay_alu instid0(VALU_DEP_1) | instskip(NEXT) | instid1(VALU_DEP_1)
	v_mul_f32_e32 v1, v23, v1
	v_minmax_f32 v1, v1, s4, 0xc3e00000
	s_delay_alu instid0(VALU_DEP_1) | instskip(SKIP_2) | instid1(VALU_DEP_3)
	v_lshrrev_b32_e32 v7, 24, v1
	v_and_b32_e32 v18, 0x7f800000, v1
	v_and_b32_e32 v10, 0x7fffff, v1
	v_and_b32_e32 v5, 0x80, v7
	s_delay_alu instid0(VALU_DEP_1) | instskip(NEXT) | instid1(VALU_DEP_4)
	v_or_b32_e32 v6, 0x7e, v5
	v_cmpx_ne_u64_e32 0x7f800000, v[18:19]
	s_xor_b32 s5, exec_lo, s0
	s_cbranch_execz .LBB8_93
; %bb.80:                               ;   in Loop: Header=BB8_15 Depth=1
	v_dual_mov_b32 v19, v11 :: v_dual_and_b32 v18, 0x7fffffff, v1
	s_mov_b32 s0, exec_lo
	s_delay_alu instid0(VALU_DEP_1)
	v_cmpx_gt_u64_e32 0x43e00001, v[18:19]
	s_xor_b32 s6, exec_lo, s0
	s_cbranch_execz .LBB8_92
; %bb.81:                               ;   in Loop: Header=BB8_15 Depth=1
	v_mov_b32_e32 v6, 0
	s_mov_b32 s7, exec_lo
	v_cmpx_ne_u32_e32 0, v1
	s_cbranch_execz .LBB8_91
; %bb.82:                               ;   in Loop: Header=BB8_15 Depth=1
	v_bfe_u32 v18, v1, 23, 8
	s_delay_alu instid0(VALU_DEP_1) | instskip(SKIP_2) | instid1(VALU_DEP_3)
	v_sub_nc_u32_e64 v1, 0x79, v18 clamp
	v_cmp_eq_u32_e32 vcc_lo, 0, v18
	v_add_nc_u32_e32 v18, 0xffffff88, v18
	v_cndmask_b32_e64 v19, v1, 0x78, vcc_lo
	v_or_b32_e32 v1, 0x800000, v10
	s_delay_alu instid0(VALU_DEP_2) | instskip(NEXT) | instid1(VALU_DEP_2)
	v_add_nc_u32_e32 v2, 20, v19
	v_cndmask_b32_e32 v10, v1, v10, vcc_lo
	v_add_nc_u32_e32 v6, 19, v19
	s_delay_alu instid0(VALU_DEP_3) | instskip(NEXT) | instid1(VALU_DEP_1)
	v_lshlrev_b64 v[1:2], v2, -1
	v_not_b32_e32 v7, v2
	s_delay_alu instid0(VALU_DEP_2) | instskip(NEXT) | instid1(VALU_DEP_4)
	v_not_b32_e32 v26, v1
	v_lshlrev_b64 v[1:2], v6, 1
	s_delay_alu instid0(VALU_DEP_3) | instskip(SKIP_1) | instid1(VALU_DEP_4)
	v_and_b32_e32 v7, 0, v7
	v_lshrrev_b64 v[24:25], v19, v[10:11]
	v_and_b32_e32 v6, v10, v26
	s_delay_alu instid0(VALU_DEP_1) | instskip(NEXT) | instid1(VALU_DEP_3)
	v_cmp_eq_u64_e64 s0, v[6:7], v[1:2]
	v_and_b32_e32 v10, 0x100000, v24
	v_cndmask_b32_e64 v1, v18, 0xffffff89, vcc_lo
	v_lshrrev_b32_e32 v2, 23, v24
	s_delay_alu instid0(VALU_DEP_3) | instskip(NEXT) | instid1(VALU_DEP_2)
	v_cmp_eq_u64_e64 s1, 0, v[10:11]
	v_add3_u32 v6, v1, v19, v2
	s_delay_alu instid0(VALU_DEP_2) | instskip(NEXT) | instid1(VALU_DEP_1)
	s_and_b32 vcc_lo, s1, s0
	v_add_nc_u32_e32 v18, -1, v6
	v_subrev_co_ci_u32_e32 v7, vcc_lo, 0, v24, vcc_lo
	s_mov_b32 s0, exec_lo
	s_delay_alu instid0(VALU_DEP_1) | instskip(NEXT) | instid1(VALU_DEP_1)
	v_and_b32_e32 v1, 0xfffff, v7
                                        ; implicit-def: $vgpr7
	v_add_co_u32 v1, vcc_lo, v1, v24
	v_add_co_ci_u32_e32 v2, vcc_lo, 0, v25, vcc_lo
	v_cmpx_ne_u32_e32 0, v18
	s_xor_b32 s0, exec_lo, s0
; %bb.83:                               ;   in Loop: Header=BB8_15 Depth=1
	s_delay_alu instid0(VALU_DEP_3) | instskip(SKIP_1) | instid1(VALU_DEP_2)
	v_and_b32_e32 v10, 0x1000000, v1
	v_bfe_u32 v7, v1, 24, 1
	v_cmp_eq_u64_e32 vcc_lo, 0, v[10:11]
	s_delay_alu instid0(VALU_DEP_2)
	v_lshrrev_b64 v[1:2], v7, v[1:2]
	v_cndmask_b32_e32 v7, v6, v18, vcc_lo
; %bb.84:                               ;   in Loop: Header=BB8_15 Depth=1
	s_and_not1_saveexec_b32 s0, s0
; %bb.85:                               ;   in Loop: Header=BB8_15 Depth=1
	s_delay_alu instid0(VALU_DEP_2)
	v_bfe_u32 v7, v1, 23, 1
; %bb.86:                               ;   in Loop: Header=BB8_15 Depth=1
	s_or_b32 exec_lo, exec_lo, s0
	s_delay_alu instid0(VALU_DEP_3) | instskip(NEXT) | instid1(VALU_DEP_2)
	v_lshrrev_b64 v[1:2], 20, v[1:2]
	v_cmp_gt_i32_e32 vcc_lo, 16, v7
	v_cmp_ne_u32_e64 s0, 0, v7
                                        ; implicit-def: $vgpr6
	s_delay_alu instid0(VALU_DEP_3) | instskip(NEXT) | instid1(VALU_DEP_1)
	v_dual_cndmask_b32 v2, 0, v2 :: v_dual_cndmask_b32 v1, 7, v1
	v_cmp_ne_u64_e32 vcc_lo, 0, v[1:2]
	s_delay_alu instid0(VALU_DEP_3) | instskip(NEXT) | instid1(SALU_CYCLE_1)
	s_or_b32 s0, s0, vcc_lo
	s_and_saveexec_b32 s1, s0
	s_delay_alu instid0(SALU_CYCLE_1)
	s_xor_b32 s0, exec_lo, s1
; %bb.87:                               ;   in Loop: Header=BB8_15 Depth=1
	v_min_i32_e32 v2, 15, v7
	s_delay_alu instid0(VALU_DEP_1) | instskip(NEXT) | instid1(VALU_DEP_1)
	v_lshl_or_b32 v2, v2, 3, v5
                                        ; implicit-def: $vgpr5
	v_and_or_b32 v6, v1, 7, v2
; %bb.88:                               ;   in Loop: Header=BB8_15 Depth=1
	s_and_not1_saveexec_b32 s0, s0
; %bb.89:                               ;   in Loop: Header=BB8_15 Depth=1
	v_mov_b32_e32 v6, v5
; %bb.90:                               ;   in Loop: Header=BB8_15 Depth=1
	s_or_b32 exec_lo, exec_lo, s0
.LBB8_91:                               ;   in Loop: Header=BB8_15 Depth=1
	s_delay_alu instid0(SALU_CYCLE_1)
	s_or_b32 exec_lo, exec_lo, s7
.LBB8_92:                               ;   in Loop: Header=BB8_15 Depth=1
	s_and_not1_saveexec_b32 s0, s6
	s_delay_alu instid0(SALU_CYCLE_1)
	s_or_b32 exec_lo, exec_lo, s0
                                        ; implicit-def: $vgpr7
.LBB8_93:                               ;   in Loop: Header=BB8_15 Depth=1
	s_and_not1_saveexec_b32 s0, s5
; %bb.94:                               ;   in Loop: Header=BB8_15 Depth=1
	v_cmp_eq_u64_e32 vcc_lo, 0, v[10:11]
	v_or_b32_e32 v1, 0x7f, v7
	s_delay_alu instid0(VALU_DEP_1)
	v_cndmask_b32_e32 v6, v1, v6, vcc_lo
; %bb.95:                               ;   in Loop: Header=BB8_15 Depth=1
	s_or_b32 exec_lo, exec_lo, s0
	v_lshrrev_b32_e32 v1, 16, v3
	global_store_b8 v[16:17], v6, off offset:4
	s_mov_b32 s0, exec_lo
	v_mov_b32_e32 v19, v11
	v_cvt_f32_f16_e32 v1, v1
	s_delay_alu instid0(VALU_DEP_1) | instskip(NEXT) | instid1(VALU_DEP_1)
	v_mul_f32_e32 v1, v23, v1
	v_minmax_f32 v1, v1, s4, 0xc3e00000
	s_delay_alu instid0(VALU_DEP_1) | instskip(SKIP_2) | instid1(VALU_DEP_3)
	v_lshrrev_b32_e32 v5, 24, v1
	v_and_b32_e32 v18, 0x7f800000, v1
	v_and_b32_e32 v10, 0x7fffff, v1
	;; [unrolled: 1-line block ×3, first 2 shown]
	s_delay_alu instid0(VALU_DEP_1) | instskip(NEXT) | instid1(VALU_DEP_4)
	v_or_b32_e32 v2, 0x7e, v3
	v_cmpx_ne_u64_e32 0x7f800000, v[18:19]
	s_xor_b32 s5, exec_lo, s0
	s_cbranch_execz .LBB8_109
; %bb.96:                               ;   in Loop: Header=BB8_15 Depth=1
	v_dual_mov_b32 v6, v11 :: v_dual_and_b32 v5, 0x7fffffff, v1
	s_mov_b32 s0, exec_lo
	s_delay_alu instid0(VALU_DEP_1)
	v_cmpx_gt_u64_e32 0x43e00001, v[5:6]
	s_xor_b32 s6, exec_lo, s0
	s_cbranch_execz .LBB8_108
; %bb.97:                               ;   in Loop: Header=BB8_15 Depth=1
	v_mov_b32_e32 v2, 0
	s_mov_b32 s7, exec_lo
	v_cmpx_ne_u32_e32 0, v1
	s_cbranch_execz .LBB8_107
; %bb.98:                               ;   in Loop: Header=BB8_15 Depth=1
	v_bfe_u32 v7, v1, 23, 8
	s_delay_alu instid0(VALU_DEP_1) | instskip(SKIP_2) | instid1(VALU_DEP_3)
	v_sub_nc_u32_e64 v1, 0x79, v7 clamp
	v_cmp_eq_u32_e32 vcc_lo, 0, v7
	v_add_nc_u32_e32 v7, 0xffffff88, v7
	v_cndmask_b32_e64 v24, v1, 0x78, vcc_lo
	v_or_b32_e32 v1, 0x800000, v10
	s_delay_alu instid0(VALU_DEP_2) | instskip(NEXT) | instid1(VALU_DEP_2)
	v_add_nc_u32_e32 v2, 20, v24
	v_dual_cndmask_b32 v10, v1, v10 :: v_dual_add_nc_u32 v5, 19, v24
	s_delay_alu instid0(VALU_DEP_2) | instskip(NEXT) | instid1(VALU_DEP_2)
	v_lshlrev_b64 v[1:2], v2, -1
	v_lshrrev_b64 v[18:19], v24, v[10:11]
	s_delay_alu instid0(VALU_DEP_2) | instskip(NEXT) | instid1(VALU_DEP_3)
	v_not_b32_e32 v6, v2
	v_not_b32_e32 v25, v1
	v_lshlrev_b64 v[1:2], v5, 1
	s_delay_alu instid0(VALU_DEP_3) | instskip(NEXT) | instid1(VALU_DEP_3)
	v_and_b32_e32 v6, 0, v6
	v_and_b32_e32 v5, v10, v25
	;; [unrolled: 1-line block ×3, first 2 shown]
	s_delay_alu instid0(VALU_DEP_2) | instskip(NEXT) | instid1(VALU_DEP_2)
	v_cmp_eq_u64_e64 s0, v[5:6], v[1:2]
	v_cmp_eq_u64_e64 s1, 0, v[10:11]
	v_cndmask_b32_e64 v1, v7, 0xffffff89, vcc_lo
	v_lshrrev_b32_e32 v2, 23, v18
	s_delay_alu instid0(VALU_DEP_3) | instskip(NEXT) | instid1(VALU_DEP_1)
	s_and_b32 vcc_lo, s1, s0
	v_add3_u32 v6, v1, v24, v2
	v_subrev_co_ci_u32_e32 v5, vcc_lo, 0, v18, vcc_lo
	s_mov_b32 s0, exec_lo
	s_delay_alu instid0(VALU_DEP_2) | instskip(NEXT) | instid1(VALU_DEP_2)
	v_add_nc_u32_e32 v7, -1, v6
	v_and_b32_e32 v1, 0xfffff, v5
                                        ; implicit-def: $vgpr5
	s_delay_alu instid0(VALU_DEP_1) | instskip(SKIP_1) | instid1(VALU_DEP_4)
	v_add_co_u32 v1, vcc_lo, v1, v18
	v_add_co_ci_u32_e32 v2, vcc_lo, 0, v19, vcc_lo
	v_cmpx_ne_u32_e32 0, v7
	s_xor_b32 s0, exec_lo, s0
; %bb.99:                               ;   in Loop: Header=BB8_15 Depth=1
	s_delay_alu instid0(VALU_DEP_3) | instskip(SKIP_1) | instid1(VALU_DEP_2)
	v_and_b32_e32 v10, 0x1000000, v1
	v_bfe_u32 v5, v1, 24, 1
	v_cmp_eq_u64_e32 vcc_lo, 0, v[10:11]
	s_delay_alu instid0(VALU_DEP_2)
	v_lshrrev_b64 v[1:2], v5, v[1:2]
	v_cndmask_b32_e32 v5, v6, v7, vcc_lo
; %bb.100:                              ;   in Loop: Header=BB8_15 Depth=1
	s_and_not1_saveexec_b32 s0, s0
; %bb.101:                              ;   in Loop: Header=BB8_15 Depth=1
	s_delay_alu instid0(VALU_DEP_2)
	v_bfe_u32 v5, v1, 23, 1
; %bb.102:                              ;   in Loop: Header=BB8_15 Depth=1
	s_or_b32 exec_lo, exec_lo, s0
	s_delay_alu instid0(VALU_DEP_3) | instskip(NEXT) | instid1(VALU_DEP_2)
	v_lshrrev_b64 v[1:2], 20, v[1:2]
	v_cmp_gt_i32_e32 vcc_lo, 16, v5
	v_cmp_ne_u32_e64 s0, 0, v5
	s_delay_alu instid0(VALU_DEP_3) | instskip(NEXT) | instid1(VALU_DEP_1)
	v_dual_cndmask_b32 v2, 0, v2 :: v_dual_cndmask_b32 v1, 7, v1
	v_cmp_ne_u64_e32 vcc_lo, 0, v[1:2]
                                        ; implicit-def: $vgpr2
	s_delay_alu instid0(VALU_DEP_3) | instskip(NEXT) | instid1(SALU_CYCLE_1)
	s_or_b32 s0, s0, vcc_lo
	s_and_saveexec_b32 s1, s0
	s_delay_alu instid0(SALU_CYCLE_1)
	s_xor_b32 s0, exec_lo, s1
; %bb.103:                              ;   in Loop: Header=BB8_15 Depth=1
	v_min_i32_e32 v2, 15, v5
	s_delay_alu instid0(VALU_DEP_1) | instskip(NEXT) | instid1(VALU_DEP_1)
	v_lshl_or_b32 v2, v2, 3, v3
                                        ; implicit-def: $vgpr3
	v_and_or_b32 v2, v1, 7, v2
; %bb.104:                              ;   in Loop: Header=BB8_15 Depth=1
	s_and_not1_saveexec_b32 s0, s0
; %bb.105:                              ;   in Loop: Header=BB8_15 Depth=1
	v_mov_b32_e32 v2, v3
; %bb.106:                              ;   in Loop: Header=BB8_15 Depth=1
	s_or_b32 exec_lo, exec_lo, s0
.LBB8_107:                              ;   in Loop: Header=BB8_15 Depth=1
	s_delay_alu instid0(SALU_CYCLE_1)
	s_or_b32 exec_lo, exec_lo, s7
.LBB8_108:                              ;   in Loop: Header=BB8_15 Depth=1
	s_and_not1_saveexec_b32 s0, s6
	s_delay_alu instid0(SALU_CYCLE_1)
	s_or_b32 exec_lo, exec_lo, s0
                                        ; implicit-def: $vgpr5
.LBB8_109:                              ;   in Loop: Header=BB8_15 Depth=1
	s_and_not1_saveexec_b32 s0, s5
; %bb.110:                              ;   in Loop: Header=BB8_15 Depth=1
	v_cmp_eq_u64_e32 vcc_lo, 0, v[10:11]
	v_or_b32_e32 v1, 0x7f, v5
	s_delay_alu instid0(VALU_DEP_1)
	v_cndmask_b32_e32 v2, v1, v2, vcc_lo
; %bb.111:                              ;   in Loop: Header=BB8_15 Depth=1
	s_or_b32 exec_lo, exec_lo, s0
	v_fma_mixlo_f16 v1, v22, v4, 0 op_sel_hi:[0,1,0]
	global_store_b8 v[16:17], v2, off offset:5
	s_mov_b32 s0, exec_lo
	v_fma_mixhi_f16 v1, v22, v4, 0 op_sel:[0,1,0] op_sel_hi:[0,1,0]
	s_delay_alu instid0(VALU_DEP_1) | instskip(SKIP_1) | instid1(VALU_DEP_2)
	v_pk_mul_f16 v3, v1, v8
	v_mov_b32_e32 v8, v11
	v_cvt_f32_f16_e32 v1, v3
	s_delay_alu instid0(VALU_DEP_1) | instskip(NEXT) | instid1(VALU_DEP_1)
	v_mul_f32_e32 v1, v23, v1
	v_minmax_f32 v1, v1, s4, 0xc3e00000
	s_delay_alu instid0(VALU_DEP_1) | instskip(SKIP_2) | instid1(VALU_DEP_3)
	v_lshrrev_b32_e32 v6, 24, v1
	v_and_b32_e32 v7, 0x7f800000, v1
	v_and_b32_e32 v10, 0x7fffff, v1
	;; [unrolled: 1-line block ×3, first 2 shown]
	s_delay_alu instid0(VALU_DEP_1) | instskip(NEXT) | instid1(VALU_DEP_4)
	v_or_b32_e32 v5, 0x7e, v4
	v_cmpx_ne_u64_e32 0x7f800000, v[7:8]
	s_xor_b32 s5, exec_lo, s0
	s_cbranch_execz .LBB8_125
; %bb.112:                              ;   in Loop: Header=BB8_15 Depth=1
	v_dual_mov_b32 v7, v11 :: v_dual_and_b32 v6, 0x7fffffff, v1
	s_mov_b32 s0, exec_lo
	s_delay_alu instid0(VALU_DEP_1)
	v_cmpx_gt_u64_e32 0x43e00001, v[6:7]
	s_xor_b32 s6, exec_lo, s0
	s_cbranch_execz .LBB8_124
; %bb.113:                              ;   in Loop: Header=BB8_15 Depth=1
	v_mov_b32_e32 v5, 0
	s_mov_b32 s7, exec_lo
	v_cmpx_ne_u32_e32 0, v1
	s_cbranch_execz .LBB8_123
; %bb.114:                              ;   in Loop: Header=BB8_15 Depth=1
	v_bfe_u32 v7, v1, 23, 8
	s_delay_alu instid0(VALU_DEP_1) | instskip(SKIP_2) | instid1(VALU_DEP_3)
	v_sub_nc_u32_e64 v1, 0x79, v7 clamp
	v_cmp_eq_u32_e32 vcc_lo, 0, v7
	v_add_nc_u32_e32 v7, 0xffffff88, v7
	v_cndmask_b32_e64 v8, v1, 0x78, vcc_lo
	v_or_b32_e32 v1, 0x800000, v10
	s_delay_alu instid0(VALU_DEP_2) | instskip(NEXT) | instid1(VALU_DEP_2)
	v_add_nc_u32_e32 v2, 20, v8
	v_dual_cndmask_b32 v10, v1, v10 :: v_dual_add_nc_u32 v5, 19, v8
	s_delay_alu instid0(VALU_DEP_2) | instskip(NEXT) | instid1(VALU_DEP_2)
	v_lshlrev_b64 v[1:2], v2, -1
	v_lshrrev_b64 v[18:19], v8, v[10:11]
	s_delay_alu instid0(VALU_DEP_2) | instskip(NEXT) | instid1(VALU_DEP_3)
	v_not_b32_e32 v6, v2
	v_not_b32_e32 v24, v1
	v_lshlrev_b64 v[1:2], v5, 1
	s_delay_alu instid0(VALU_DEP_3) | instskip(NEXT) | instid1(VALU_DEP_3)
	v_and_b32_e32 v6, 0, v6
	v_and_b32_e32 v5, v10, v24
	;; [unrolled: 1-line block ×3, first 2 shown]
	s_delay_alu instid0(VALU_DEP_2) | instskip(NEXT) | instid1(VALU_DEP_2)
	v_cmp_eq_u64_e64 s0, v[5:6], v[1:2]
	v_cmp_eq_u64_e64 s1, 0, v[10:11]
	v_cndmask_b32_e64 v1, v7, 0xffffff89, vcc_lo
	v_lshrrev_b32_e32 v2, 23, v18
	s_delay_alu instid0(VALU_DEP_3) | instskip(NEXT) | instid1(VALU_DEP_1)
	s_and_b32 vcc_lo, s1, s0
	v_add3_u32 v5, v1, v8, v2
	v_subrev_co_ci_u32_e32 v6, vcc_lo, 0, v18, vcc_lo
	s_mov_b32 s0, exec_lo
	s_delay_alu instid0(VALU_DEP_2) | instskip(NEXT) | instid1(VALU_DEP_2)
	v_add_nc_u32_e32 v7, -1, v5
	v_and_b32_e32 v1, 0xfffff, v6
                                        ; implicit-def: $vgpr6
	s_delay_alu instid0(VALU_DEP_1) | instskip(SKIP_1) | instid1(VALU_DEP_4)
	v_add_co_u32 v1, vcc_lo, v1, v18
	v_add_co_ci_u32_e32 v2, vcc_lo, 0, v19, vcc_lo
	v_cmpx_ne_u32_e32 0, v7
	s_xor_b32 s0, exec_lo, s0
; %bb.115:                              ;   in Loop: Header=BB8_15 Depth=1
	s_delay_alu instid0(VALU_DEP_3) | instskip(SKIP_1) | instid1(VALU_DEP_2)
	v_and_b32_e32 v10, 0x1000000, v1
	v_bfe_u32 v6, v1, 24, 1
	v_cmp_eq_u64_e32 vcc_lo, 0, v[10:11]
	s_delay_alu instid0(VALU_DEP_2)
	v_lshrrev_b64 v[1:2], v6, v[1:2]
	v_cndmask_b32_e32 v6, v5, v7, vcc_lo
; %bb.116:                              ;   in Loop: Header=BB8_15 Depth=1
	s_and_not1_saveexec_b32 s0, s0
; %bb.117:                              ;   in Loop: Header=BB8_15 Depth=1
	s_delay_alu instid0(VALU_DEP_2)
	v_bfe_u32 v6, v1, 23, 1
; %bb.118:                              ;   in Loop: Header=BB8_15 Depth=1
	s_or_b32 exec_lo, exec_lo, s0
	s_delay_alu instid0(VALU_DEP_3) | instskip(NEXT) | instid1(VALU_DEP_2)
	v_lshrrev_b64 v[1:2], 20, v[1:2]
	v_cmp_gt_i32_e32 vcc_lo, 16, v6
	v_cmp_ne_u32_e64 s0, 0, v6
                                        ; implicit-def: $vgpr5
	s_delay_alu instid0(VALU_DEP_3) | instskip(NEXT) | instid1(VALU_DEP_1)
	v_dual_cndmask_b32 v2, 0, v2 :: v_dual_cndmask_b32 v1, 7, v1
	v_cmp_ne_u64_e32 vcc_lo, 0, v[1:2]
	s_delay_alu instid0(VALU_DEP_3) | instskip(NEXT) | instid1(SALU_CYCLE_1)
	s_or_b32 s0, s0, vcc_lo
	s_and_saveexec_b32 s1, s0
	s_delay_alu instid0(SALU_CYCLE_1)
	s_xor_b32 s0, exec_lo, s1
; %bb.119:                              ;   in Loop: Header=BB8_15 Depth=1
	v_min_i32_e32 v2, 15, v6
	s_delay_alu instid0(VALU_DEP_1) | instskip(NEXT) | instid1(VALU_DEP_1)
	v_lshl_or_b32 v2, v2, 3, v4
                                        ; implicit-def: $vgpr4
	v_and_or_b32 v5, v1, 7, v2
; %bb.120:                              ;   in Loop: Header=BB8_15 Depth=1
	s_and_not1_saveexec_b32 s0, s0
; %bb.121:                              ;   in Loop: Header=BB8_15 Depth=1
	v_mov_b32_e32 v5, v4
; %bb.122:                              ;   in Loop: Header=BB8_15 Depth=1
	s_or_b32 exec_lo, exec_lo, s0
.LBB8_123:                              ;   in Loop: Header=BB8_15 Depth=1
	s_delay_alu instid0(SALU_CYCLE_1)
	s_or_b32 exec_lo, exec_lo, s7
.LBB8_124:                              ;   in Loop: Header=BB8_15 Depth=1
	s_and_not1_saveexec_b32 s0, s6
	s_delay_alu instid0(SALU_CYCLE_1)
	s_or_b32 exec_lo, exec_lo, s0
                                        ; implicit-def: $vgpr6
.LBB8_125:                              ;   in Loop: Header=BB8_15 Depth=1
	s_and_not1_saveexec_b32 s0, s5
; %bb.126:                              ;   in Loop: Header=BB8_15 Depth=1
	v_cmp_eq_u64_e32 vcc_lo, 0, v[10:11]
	v_or_b32_e32 v1, 0x7f, v6
	s_delay_alu instid0(VALU_DEP_1)
	v_cndmask_b32_e32 v5, v1, v5, vcc_lo
; %bb.127:                              ;   in Loop: Header=BB8_15 Depth=1
	s_or_b32 exec_lo, exec_lo, s0
	v_lshrrev_b32_e32 v1, 16, v3
	global_store_b8 v[16:17], v5, off offset:6
	s_mov_b32 s0, exec_lo
	v_mov_b32_e32 v7, v11
	v_cvt_f32_f16_e32 v1, v1
	s_delay_alu instid0(VALU_DEP_1) | instskip(NEXT) | instid1(VALU_DEP_1)
	v_mul_f32_e32 v1, v23, v1
	v_minmax_f32 v1, v1, s4, 0xc3e00000
	s_delay_alu instid0(VALU_DEP_1) | instskip(SKIP_2) | instid1(VALU_DEP_3)
	v_lshrrev_b32_e32 v4, 24, v1
	v_and_b32_e32 v6, 0x7f800000, v1
	v_and_b32_e32 v10, 0x7fffff, v1
	;; [unrolled: 1-line block ×3, first 2 shown]
	s_delay_alu instid0(VALU_DEP_1) | instskip(NEXT) | instid1(VALU_DEP_4)
	v_or_b32_e32 v2, 0x7e, v3
	v_cmpx_ne_u64_e32 0x7f800000, v[6:7]
	s_xor_b32 s5, exec_lo, s0
	s_cbranch_execz .LBB8_141
; %bb.128:                              ;   in Loop: Header=BB8_15 Depth=1
	v_dual_mov_b32 v5, v11 :: v_dual_and_b32 v4, 0x7fffffff, v1
	s_mov_b32 s0, exec_lo
	s_delay_alu instid0(VALU_DEP_1)
	v_cmpx_gt_u64_e32 0x43e00001, v[4:5]
	s_xor_b32 s6, exec_lo, s0
	s_cbranch_execz .LBB8_140
; %bb.129:                              ;   in Loop: Header=BB8_15 Depth=1
	v_mov_b32_e32 v2, 0
	s_mov_b32 s7, exec_lo
	v_cmpx_ne_u32_e32 0, v1
	s_cbranch_execz .LBB8_139
; %bb.130:                              ;   in Loop: Header=BB8_15 Depth=1
	v_bfe_u32 v6, v1, 23, 8
	s_delay_alu instid0(VALU_DEP_1) | instskip(SKIP_2) | instid1(VALU_DEP_3)
	v_sub_nc_u32_e64 v1, 0x79, v6 clamp
	v_cmp_eq_u32_e32 vcc_lo, 0, v6
	v_add_nc_u32_e32 v6, 0xffffff88, v6
	v_cndmask_b32_e64 v18, v1, 0x78, vcc_lo
	v_or_b32_e32 v1, 0x800000, v10
	s_delay_alu instid0(VALU_DEP_2) | instskip(NEXT) | instid1(VALU_DEP_2)
	v_add_nc_u32_e32 v2, 20, v18
	v_cndmask_b32_e32 v10, v1, v10, vcc_lo
	v_add_nc_u32_e32 v4, 19, v18
	s_delay_alu instid0(VALU_DEP_3) | instskip(NEXT) | instid1(VALU_DEP_1)
	v_lshlrev_b64 v[1:2], v2, -1
	v_not_b32_e32 v5, v2
	s_delay_alu instid0(VALU_DEP_2) | instskip(NEXT) | instid1(VALU_DEP_4)
	v_not_b32_e32 v19, v1
	v_lshlrev_b64 v[1:2], v4, 1
	s_delay_alu instid0(VALU_DEP_3) | instskip(SKIP_1) | instid1(VALU_DEP_4)
	v_and_b32_e32 v5, 0, v5
	v_lshrrev_b64 v[7:8], v18, v[10:11]
	v_and_b32_e32 v4, v10, v19
	s_delay_alu instid0(VALU_DEP_1) | instskip(NEXT) | instid1(VALU_DEP_3)
	v_cmp_eq_u64_e64 s0, v[4:5], v[1:2]
	v_and_b32_e32 v10, 0x100000, v7
	v_cndmask_b32_e64 v1, v6, 0xffffff89, vcc_lo
	v_lshrrev_b32_e32 v2, 23, v7
	s_delay_alu instid0(VALU_DEP_3) | instskip(NEXT) | instid1(VALU_DEP_2)
	v_cmp_eq_u64_e64 s1, 0, v[10:11]
	v_add3_u32 v5, v1, v18, v2
	s_delay_alu instid0(VALU_DEP_2) | instskip(NEXT) | instid1(VALU_DEP_1)
	s_and_b32 vcc_lo, s1, s0
	v_add_nc_u32_e32 v6, -1, v5
	v_subrev_co_ci_u32_e32 v4, vcc_lo, 0, v7, vcc_lo
	s_mov_b32 s0, exec_lo
	s_delay_alu instid0(VALU_DEP_1) | instskip(NEXT) | instid1(VALU_DEP_1)
	v_and_b32_e32 v1, 0xfffff, v4
                                        ; implicit-def: $vgpr4
	v_add_co_u32 v1, vcc_lo, v1, v7
	v_add_co_ci_u32_e32 v2, vcc_lo, 0, v8, vcc_lo
	v_cmpx_ne_u32_e32 0, v6
	s_xor_b32 s0, exec_lo, s0
; %bb.131:                              ;   in Loop: Header=BB8_15 Depth=1
	s_delay_alu instid0(VALU_DEP_3) | instskip(SKIP_1) | instid1(VALU_DEP_2)
	v_and_b32_e32 v10, 0x1000000, v1
	v_bfe_u32 v4, v1, 24, 1
	v_cmp_eq_u64_e32 vcc_lo, 0, v[10:11]
	s_delay_alu instid0(VALU_DEP_2)
	v_lshrrev_b64 v[1:2], v4, v[1:2]
	v_cndmask_b32_e32 v4, v5, v6, vcc_lo
; %bb.132:                              ;   in Loop: Header=BB8_15 Depth=1
	s_and_not1_saveexec_b32 s0, s0
; %bb.133:                              ;   in Loop: Header=BB8_15 Depth=1
	s_delay_alu instid0(VALU_DEP_2)
	v_bfe_u32 v4, v1, 23, 1
; %bb.134:                              ;   in Loop: Header=BB8_15 Depth=1
	s_or_b32 exec_lo, exec_lo, s0
	s_delay_alu instid0(VALU_DEP_3) | instskip(NEXT) | instid1(VALU_DEP_2)
	v_lshrrev_b64 v[1:2], 20, v[1:2]
	v_cmp_gt_i32_e32 vcc_lo, 16, v4
	v_cmp_ne_u32_e64 s0, 0, v4
	s_delay_alu instid0(VALU_DEP_3) | instskip(NEXT) | instid1(VALU_DEP_1)
	v_dual_cndmask_b32 v2, 0, v2 :: v_dual_cndmask_b32 v1, 7, v1
	v_cmp_ne_u64_e32 vcc_lo, 0, v[1:2]
                                        ; implicit-def: $vgpr2
	s_delay_alu instid0(VALU_DEP_3) | instskip(NEXT) | instid1(SALU_CYCLE_1)
	s_or_b32 s0, s0, vcc_lo
	s_and_saveexec_b32 s1, s0
	s_delay_alu instid0(SALU_CYCLE_1)
	s_xor_b32 s0, exec_lo, s1
; %bb.135:                              ;   in Loop: Header=BB8_15 Depth=1
	v_min_i32_e32 v2, 15, v4
	s_delay_alu instid0(VALU_DEP_1) | instskip(NEXT) | instid1(VALU_DEP_1)
	v_lshl_or_b32 v2, v2, 3, v3
                                        ; implicit-def: $vgpr3
	v_and_or_b32 v2, v1, 7, v2
; %bb.136:                              ;   in Loop: Header=BB8_15 Depth=1
	s_and_not1_saveexec_b32 s0, s0
; %bb.137:                              ;   in Loop: Header=BB8_15 Depth=1
	v_mov_b32_e32 v2, v3
; %bb.138:                              ;   in Loop: Header=BB8_15 Depth=1
	s_or_b32 exec_lo, exec_lo, s0
.LBB8_139:                              ;   in Loop: Header=BB8_15 Depth=1
	s_delay_alu instid0(SALU_CYCLE_1)
	s_or_b32 exec_lo, exec_lo, s7
.LBB8_140:                              ;   in Loop: Header=BB8_15 Depth=1
	s_and_not1_saveexec_b32 s0, s6
	s_delay_alu instid0(SALU_CYCLE_1)
	s_or_b32 exec_lo, exec_lo, s0
                                        ; implicit-def: $vgpr4
.LBB8_141:                              ;   in Loop: Header=BB8_15 Depth=1
	s_and_not1_saveexec_b32 s0, s5
	s_cbranch_execz .LBB8_14
; %bb.142:                              ;   in Loop: Header=BB8_15 Depth=1
	v_cmp_eq_u64_e32 vcc_lo, 0, v[10:11]
	v_or_b32_e32 v1, 0x7f, v4
	s_delay_alu instid0(VALU_DEP_1)
	v_cndmask_b32_e32 v2, v1, v2, vcc_lo
	s_branch .LBB8_14
.LBB8_143:
	s_nop 0
	s_sendmsg sendmsg(MSG_DEALLOC_VGPRS)
	s_endpgm
	.section	.rodata,"a",@progbits
	.p2align	6, 0x0
	.amdhsa_kernel _ZN4vllm42fused_add_rms_norm_static_fp8_quant_kernelIN3c104HalfELi8ENS1_13Float8_e4m3fnEEENSt9enable_ifIXaagtT0_Li0Esr12_typeConvertIT_EE6existsEvE4typeEPT1_PS5_iSA_PKS5_PKffii
		.amdhsa_group_segment_fixed_size 132
		.amdhsa_private_segment_fixed_size 0
		.amdhsa_kernarg_size 320
		.amdhsa_user_sgpr_count 15
		.amdhsa_user_sgpr_dispatch_ptr 0
		.amdhsa_user_sgpr_queue_ptr 0
		.amdhsa_user_sgpr_kernarg_segment_ptr 1
		.amdhsa_user_sgpr_dispatch_id 0
		.amdhsa_user_sgpr_private_segment_size 0
		.amdhsa_wavefront_size32 1
		.amdhsa_uses_dynamic_stack 0
		.amdhsa_enable_private_segment 0
		.amdhsa_system_sgpr_workgroup_id_x 1
		.amdhsa_system_sgpr_workgroup_id_y 0
		.amdhsa_system_sgpr_workgroup_id_z 0
		.amdhsa_system_sgpr_workgroup_info 0
		.amdhsa_system_vgpr_workitem_id 0
		.amdhsa_next_free_vgpr 30
		.amdhsa_next_free_sgpr 21
		.amdhsa_reserve_vcc 1
		.amdhsa_float_round_mode_32 0
		.amdhsa_float_round_mode_16_64 0
		.amdhsa_float_denorm_mode_32 3
		.amdhsa_float_denorm_mode_16_64 3
		.amdhsa_dx10_clamp 1
		.amdhsa_ieee_mode 1
		.amdhsa_fp16_overflow 0
		.amdhsa_workgroup_processor_mode 1
		.amdhsa_memory_ordered 1
		.amdhsa_forward_progress 0
		.amdhsa_shared_vgpr_count 0
		.amdhsa_exception_fp_ieee_invalid_op 0
		.amdhsa_exception_fp_denorm_src 0
		.amdhsa_exception_fp_ieee_div_zero 0
		.amdhsa_exception_fp_ieee_overflow 0
		.amdhsa_exception_fp_ieee_underflow 0
		.amdhsa_exception_fp_ieee_inexact 0
		.amdhsa_exception_int_div_zero 0
	.end_amdhsa_kernel
	.section	.text._ZN4vllm42fused_add_rms_norm_static_fp8_quant_kernelIN3c104HalfELi8ENS1_13Float8_e4m3fnEEENSt9enable_ifIXaagtT0_Li0Esr12_typeConvertIT_EE6existsEvE4typeEPT1_PS5_iSA_PKS5_PKffii,"axG",@progbits,_ZN4vllm42fused_add_rms_norm_static_fp8_quant_kernelIN3c104HalfELi8ENS1_13Float8_e4m3fnEEENSt9enable_ifIXaagtT0_Li0Esr12_typeConvertIT_EE6existsEvE4typeEPT1_PS5_iSA_PKS5_PKffii,comdat
.Lfunc_end8:
	.size	_ZN4vllm42fused_add_rms_norm_static_fp8_quant_kernelIN3c104HalfELi8ENS1_13Float8_e4m3fnEEENSt9enable_ifIXaagtT0_Li0Esr12_typeConvertIT_EE6existsEvE4typeEPT1_PS5_iSA_PKS5_PKffii, .Lfunc_end8-_ZN4vllm42fused_add_rms_norm_static_fp8_quant_kernelIN3c104HalfELi8ENS1_13Float8_e4m3fnEEENSt9enable_ifIXaagtT0_Li0Esr12_typeConvertIT_EE6existsEvE4typeEPT1_PS5_iSA_PKS5_PKffii
                                        ; -- End function
	.section	.AMDGPU.csdata,"",@progbits
; Kernel info:
; codeLenInByte = 6456
; NumSgprs: 23
; NumVgprs: 30
; ScratchSize: 0
; MemoryBound: 0
; FloatMode: 240
; IeeeMode: 1
; LDSByteSize: 132 bytes/workgroup (compile time only)
; SGPRBlocks: 2
; VGPRBlocks: 3
; NumSGPRsForWavesPerEU: 23
; NumVGPRsForWavesPerEU: 30
; Occupancy: 16
; WaveLimiterHint : 0
; COMPUTE_PGM_RSRC2:SCRATCH_EN: 0
; COMPUTE_PGM_RSRC2:USER_SGPR: 15
; COMPUTE_PGM_RSRC2:TRAP_HANDLER: 0
; COMPUTE_PGM_RSRC2:TGID_X_EN: 1
; COMPUTE_PGM_RSRC2:TGID_Y_EN: 0
; COMPUTE_PGM_RSRC2:TGID_Z_EN: 0
; COMPUTE_PGM_RSRC2:TIDIG_COMP_CNT: 0
	.section	.text._ZN4vllm42fused_add_rms_norm_static_fp8_quant_kernelIN3c104HalfELi8ENS1_15Float8_e4m3fnuzEEENSt9enable_ifIXaagtT0_Li0Esr12_typeConvertIT_EE6existsEvE4typeEPT1_PS5_iSA_PKS5_PKffii,"axG",@progbits,_ZN4vllm42fused_add_rms_norm_static_fp8_quant_kernelIN3c104HalfELi8ENS1_15Float8_e4m3fnuzEEENSt9enable_ifIXaagtT0_Li0Esr12_typeConvertIT_EE6existsEvE4typeEPT1_PS5_iSA_PKS5_PKffii,comdat
	.protected	_ZN4vllm42fused_add_rms_norm_static_fp8_quant_kernelIN3c104HalfELi8ENS1_15Float8_e4m3fnuzEEENSt9enable_ifIXaagtT0_Li0Esr12_typeConvertIT_EE6existsEvE4typeEPT1_PS5_iSA_PKS5_PKffii ; -- Begin function _ZN4vllm42fused_add_rms_norm_static_fp8_quant_kernelIN3c104HalfELi8ENS1_15Float8_e4m3fnuzEEENSt9enable_ifIXaagtT0_Li0Esr12_typeConvertIT_EE6existsEvE4typeEPT1_PS5_iSA_PKS5_PKffii
	.globl	_ZN4vllm42fused_add_rms_norm_static_fp8_quant_kernelIN3c104HalfELi8ENS1_15Float8_e4m3fnuzEEENSt9enable_ifIXaagtT0_Li0Esr12_typeConvertIT_EE6existsEvE4typeEPT1_PS5_iSA_PKS5_PKffii
	.p2align	8
	.type	_ZN4vllm42fused_add_rms_norm_static_fp8_quant_kernelIN3c104HalfELi8ENS1_15Float8_e4m3fnuzEEENSt9enable_ifIXaagtT0_Li0Esr12_typeConvertIT_EE6existsEvE4typeEPT1_PS5_iSA_PKS5_PKffii,@function
_ZN4vllm42fused_add_rms_norm_static_fp8_quant_kernelIN3c104HalfELi8ENS1_15Float8_e4m3fnuzEEENSt9enable_ifIXaagtT0_Li0Esr12_typeConvertIT_EE6existsEvE4typeEPT1_PS5_iSA_PKS5_PKffii: ; @_ZN4vllm42fused_add_rms_norm_static_fp8_quant_kernelIN3c104HalfELi8ENS1_15Float8_e4m3fnuzEEENSt9enable_ifIXaagtT0_Li0Esr12_typeConvertIT_EE6existsEvE4typeEPT1_PS5_iSA_PKS5_PKffii
; %bb.0:
	s_clause 0x1
	s_load_b32 s16, s[0:1], 0x38
	s_load_b64 s[8:9], s[0:1], 0x18
	s_mov_b32 s4, exec_lo
                                        ; implicit-def: $sgpr13
                                        ; implicit-def: $sgpr12
	s_waitcnt lgkmcnt(0)
	s_ashr_i32 s2, s16, 31
	s_delay_alu instid0(SALU_CYCLE_1) | instskip(NEXT) | instid1(SALU_CYCLE_1)
	s_lshr_b32 s2, s2, 29
	s_add_i32 s2, s16, s2
	s_delay_alu instid0(SALU_CYCLE_1) | instskip(NEXT) | instid1(SALU_CYCLE_1)
	s_ashr_i32 s3, s2, 3
	v_cmp_gt_i32_e64 s2, s3, v0
	v_cmpx_le_i32_e64 s3, v0
	s_xor_b32 s4, exec_lo, s4
	s_cbranch_execz .LBB9_2
; %bb.1:
	s_load_b32 s5, s[0:1], 0x4c
	s_mov_b32 s13, 0
	s_waitcnt lgkmcnt(0)
	s_and_b32 s12, s5, 0xffff
.LBB9_2:
	s_or_saveexec_b32 s17, s4
	s_clause 0x1
	s_load_b64 s[10:11], s[0:1], 0x0
	s_load_b128 s[4:7], s[0:1], 0x20
	v_mov_b32_e32 v1, s13
	v_mov_b32_e32 v9, s12
	s_mul_i32 s14, s3, s15
	s_xor_b32 exec_lo, exec_lo, s17
	s_cbranch_execz .LBB9_6
; %bb.3:
	s_clause 0x2
	s_load_b32 s18, s[0:1], 0x10
	s_load_b32 s19, s[0:1], 0x4c
	s_load_b64 s[12:13], s[0:1], 0x8
	v_dual_mov_b32 v1, 0 :: v_dual_mov_b32 v2, v0
	s_waitcnt lgkmcnt(0)
	s_ashr_i32 s20, s18, 31
	s_delay_alu instid0(SALU_CYCLE_1) | instskip(NEXT) | instid1(SALU_CYCLE_1)
	s_lshr_b32 s20, s20, 29
	s_add_i32 s18, s18, s20
	s_delay_alu instid0(SALU_CYCLE_1)
	s_ashr_i32 s20, s18, 3
	s_and_b32 s18, s19, 0xffff
	s_mul_i32 s19, s20, s15
	s_mov_b32 s15, 0
.LBB9_4:                                ; =>This Inner Loop Header: Depth=1
	v_add_nc_u32_e32 v3, s19, v2
	v_add_nc_u32_e32 v5, s14, v2
	;; [unrolled: 1-line block ×3, first 2 shown]
	s_delay_alu instid0(VALU_DEP_3) | instskip(NEXT) | instid1(VALU_DEP_3)
	v_ashrrev_i32_e32 v4, 31, v3
	v_ashrrev_i32_e32 v6, 31, v5
	s_delay_alu instid0(VALU_DEP_2) | instskip(NEXT) | instid1(VALU_DEP_2)
	v_lshlrev_b64 v[3:4], 4, v[3:4]
	v_lshlrev_b64 v[5:6], 4, v[5:6]
	s_delay_alu instid0(VALU_DEP_2) | instskip(NEXT) | instid1(VALU_DEP_3)
	v_add_co_u32 v3, vcc_lo, s12, v3
	v_add_co_ci_u32_e32 v4, vcc_lo, s13, v4, vcc_lo
	s_delay_alu instid0(VALU_DEP_3) | instskip(NEXT) | instid1(VALU_DEP_4)
	v_add_co_u32 v11, vcc_lo, s8, v5
	v_add_co_ci_u32_e32 v12, vcc_lo, s9, v6, vcc_lo
	global_load_b128 v[3:6], v[3:4], off
	global_load_b128 v[7:10], v[11:12], off
	v_cmp_le_i32_e32 vcc_lo, s3, v2
	s_or_b32 s15, vcc_lo, s15
	s_waitcnt vmcnt(0)
	v_pk_add_f16 v3, v3, v7
	v_pk_add_f16 v4, v4, v8
	;; [unrolled: 1-line block ×4, first 2 shown]
	s_delay_alu instid0(VALU_DEP_4) | instskip(NEXT) | instid1(VALU_DEP_4)
	v_lshrrev_b32_e32 v7, 16, v3
	v_lshrrev_b32_e32 v8, 16, v4
	s_delay_alu instid0(VALU_DEP_4) | instskip(NEXT) | instid1(VALU_DEP_4)
	v_lshrrev_b32_e32 v9, 16, v5
	v_lshrrev_b32_e32 v10, 16, v6
	global_store_b128 v[11:12], v[3:6], off
	v_cvt_f32_f16_e32 v7, v7
	v_cvt_f32_f16_e32 v8, v8
	;; [unrolled: 1-line block ×4, first 2 shown]
	s_delay_alu instid0(VALU_DEP_3) | instskip(NEXT) | instid1(VALU_DEP_2)
	v_dual_mul_f32 v7, v7, v7 :: v_dual_mul_f32 v8, v8, v8
	v_dual_mul_f32 v9, v9, v9 :: v_dual_mul_f32 v10, v10, v10
	s_delay_alu instid0(VALU_DEP_2) | instskip(NEXT) | instid1(VALU_DEP_3)
	v_fma_mix_f32 v7, v3, v3, v7 op_sel_hi:[1,1,0]
	v_fma_mix_f32 v8, v4, v4, v8 op_sel_hi:[1,1,0]
	s_delay_alu instid0(VALU_DEP_3) | instskip(NEXT) | instid1(VALU_DEP_2)
	v_fma_mix_f32 v9, v5, v5, v9 op_sel_hi:[1,1,0]
	v_add_f32_e32 v7, v7, v8
	v_fma_mix_f32 v8, v6, v6, v10 op_sel_hi:[1,1,0]
	s_delay_alu instid0(VALU_DEP_2) | instskip(NEXT) | instid1(VALU_DEP_1)
	v_add_f32_e32 v7, v7, v9
	v_add_f32_e32 v7, v7, v8
	s_delay_alu instid0(VALU_DEP_1)
	v_add_f32_e32 v1, v1, v7
	s_and_not1_b32 exec_lo, exec_lo, s15
	s_cbranch_execnz .LBB9_4
; %bb.5:
	s_or_b32 exec_lo, exec_lo, s15
	v_mov_b32_e32 v9, s18
.LBB9_6:
	s_or_b32 exec_lo, exec_lo, s17
	v_mbcnt_lo_u32_b32 v2, -1, 0
	s_mov_b32 s12, exec_lo
	s_delay_alu instid0(VALU_DEP_1) | instskip(SKIP_2) | instid1(VALU_DEP_2)
	v_cmp_ne_u32_e32 vcc_lo, 31, v2
	v_add_co_ci_u32_e32 v3, vcc_lo, 0, v2, vcc_lo
	v_cmp_gt_u32_e32 vcc_lo, 30, v2
	v_lshlrev_b32_e32 v3, 2, v3
	v_cndmask_b32_e64 v6, 0, 1, vcc_lo
	ds_bpermute_b32 v5, v3, v1
	s_waitcnt lgkmcnt(0)
	v_dual_add_f32 v7, v1, v5 :: v_dual_and_b32 v4, 0x3e0, v0
	s_delay_alu instid0(VALU_DEP_1) | instskip(SKIP_1) | instid1(VALU_DEP_1)
	v_sub_nc_u32_e64 v13, v9, v4 clamp
	v_add_nc_u32_e32 v4, 1, v2
	v_cmp_lt_u32_e32 vcc_lo, v4, v13
	s_delay_alu instid0(VALU_DEP_4) | instskip(NEXT) | instid1(VALU_DEP_1)
	v_dual_cndmask_b32 v7, v1, v7 :: v_dual_lshlrev_b32 v6, 1, v6
	v_add_lshl_u32 v5, v6, v2, 2
	v_cmp_gt_u32_e32 vcc_lo, 28, v2
	ds_bpermute_b32 v6, v5, v7
	v_cndmask_b32_e64 v1, 0, 1, vcc_lo
	s_delay_alu instid0(VALU_DEP_1) | instskip(SKIP_1) | instid1(VALU_DEP_1)
	v_lshlrev_b32_e32 v8, 2, v1
	v_add_nc_u32_e32 v1, 2, v2
	v_cmp_lt_u32_e32 vcc_lo, v1, v13
	s_waitcnt lgkmcnt(0)
	v_add_f32_e32 v10, v7, v6
	v_add_lshl_u32 v6, v8, v2, 2
	s_delay_alu instid0(VALU_DEP_2) | instskip(SKIP_2) | instid1(VALU_DEP_1)
	v_cndmask_b32_e32 v10, v7, v10, vcc_lo
	v_cmp_gt_u32_e32 vcc_lo, 24, v2
	v_cndmask_b32_e64 v7, 0, 1, vcc_lo
	v_lshlrev_b32_e32 v11, 3, v7
	ds_bpermute_b32 v8, v6, v10
	s_waitcnt lgkmcnt(0)
	v_dual_add_f32 v12, v10, v8 :: v_dual_add_nc_u32 v7, 4, v2
	v_add_lshl_u32 v8, v11, v2, 2
	s_delay_alu instid0(VALU_DEP_2) | instskip(NEXT) | instid1(VALU_DEP_3)
	v_cmp_lt_u32_e32 vcc_lo, v7, v13
	v_cndmask_b32_e32 v12, v10, v12, vcc_lo
	v_cmp_gt_u32_e32 vcc_lo, 16, v2
	ds_bpermute_b32 v11, v8, v12
	v_cndmask_b32_e64 v10, 0, 1, vcc_lo
	s_delay_alu instid0(VALU_DEP_1) | instskip(SKIP_1) | instid1(VALU_DEP_1)
	v_lshlrev_b32_e32 v14, 4, v10
	v_add_nc_u32_e32 v10, 8, v2
	v_cmp_lt_u32_e32 vcc_lo, v10, v13
	s_waitcnt lgkmcnt(0)
	v_add_f32_e32 v15, v12, v11
	v_add_lshl_u32 v11, v14, v2, 2
	s_delay_alu instid0(VALU_DEP_2)
	v_cndmask_b32_e32 v14, v12, v15, vcc_lo
	v_add_nc_u32_e32 v12, 16, v2
	ds_bpermute_b32 v15, v11, v14
	v_cmp_lt_u32_e32 vcc_lo, v12, v13
	s_waitcnt lgkmcnt(0)
	v_add_f32_e32 v15, v14, v15
	s_delay_alu instid0(VALU_DEP_1)
	v_cndmask_b32_e32 v13, v14, v15, vcc_lo
	v_cmpx_eq_u32_e32 0, v2
	s_cbranch_execz .LBB9_8
; %bb.7:
	v_lshrrev_b32_e32 v14, 3, v0
	s_delay_alu instid0(VALU_DEP_1)
	v_and_b32_e32 v14, 0x7c, v14
	ds_store_b32 v14, v13
.LBB9_8:
	s_or_b32 exec_lo, exec_lo, s12
	s_delay_alu instid0(SALU_CYCLE_1)
	s_mov_b32 s12, exec_lo
	s_waitcnt lgkmcnt(0)
	s_waitcnt_vscnt null, 0x0
	s_barrier
	buffer_gl0_inv
	v_cmpx_gt_u32_e32 32, v0
	s_cbranch_execz .LBB9_10
; %bb.9:
	v_lshlrev_b32_e32 v2, 2, v2
	ds_load_b32 v2, v2
	s_waitcnt lgkmcnt(0)
	ds_bpermute_b32 v3, v3, v2
	s_waitcnt lgkmcnt(0)
	v_add_f32_e32 v3, v2, v3
	v_add_nc_u32_e32 v13, 31, v9
	s_delay_alu instid0(VALU_DEP_1) | instskip(NEXT) | instid1(VALU_DEP_1)
	v_lshrrev_b32_e32 v13, 5, v13
	v_cmp_lt_u32_e32 vcc_lo, v4, v13
	s_delay_alu instid0(VALU_DEP_4) | instskip(SKIP_4) | instid1(VALU_DEP_1)
	v_cndmask_b32_e32 v2, v2, v3, vcc_lo
	v_cmp_lt_u32_e32 vcc_lo, v1, v13
	ds_bpermute_b32 v3, v5, v2
	s_waitcnt lgkmcnt(0)
	v_add_f32_e32 v3, v2, v3
	v_cndmask_b32_e32 v1, v2, v3, vcc_lo
	v_cmp_lt_u32_e32 vcc_lo, v7, v13
	ds_bpermute_b32 v2, v6, v1
	s_waitcnt lgkmcnt(0)
	v_add_f32_e32 v2, v1, v2
	s_delay_alu instid0(VALU_DEP_1) | instskip(SKIP_4) | instid1(VALU_DEP_1)
	v_cndmask_b32_e32 v1, v1, v2, vcc_lo
	v_cmp_lt_u32_e32 vcc_lo, v10, v13
	ds_bpermute_b32 v2, v8, v1
	s_waitcnt lgkmcnt(0)
	v_add_f32_e32 v2, v1, v2
	v_cndmask_b32_e32 v1, v1, v2, vcc_lo
	v_cmp_lt_u32_e32 vcc_lo, v12, v13
	ds_bpermute_b32 v2, v11, v1
	s_waitcnt lgkmcnt(0)
	v_add_f32_e32 v2, v1, v2
	s_delay_alu instid0(VALU_DEP_1)
	v_cndmask_b32_e32 v13, v1, v2, vcc_lo
.LBB9_10:
	s_or_b32 exec_lo, exec_lo, s12
	s_delay_alu instid0(SALU_CYCLE_1)
	s_mov_b32 s12, exec_lo
	v_cmpx_eq_u32_e32 0, v0
	s_cbranch_execz .LBB9_12
; %bb.11:
	v_cvt_f32_i32_e32 v1, s16
	s_load_b32 s0, s[0:1], 0x30
	s_delay_alu instid0(VALU_DEP_1) | instskip(SKIP_1) | instid1(VALU_DEP_2)
	v_div_scale_f32 v2, null, v1, v1, v13
	v_div_scale_f32 v5, vcc_lo, v13, v1, v13
	v_rcp_f32_e32 v3, v2
	s_waitcnt_depctr 0xfff
	v_fma_f32 v4, -v2, v3, 1.0
	s_delay_alu instid0(VALU_DEP_1) | instskip(NEXT) | instid1(VALU_DEP_1)
	v_fmac_f32_e32 v3, v4, v3
	v_mul_f32_e32 v4, v5, v3
	s_delay_alu instid0(VALU_DEP_1) | instskip(NEXT) | instid1(VALU_DEP_1)
	v_fma_f32 v6, -v2, v4, v5
	v_fmac_f32_e32 v4, v6, v3
	s_delay_alu instid0(VALU_DEP_1) | instskip(NEXT) | instid1(VALU_DEP_1)
	v_fma_f32 v2, -v2, v4, v5
	v_div_fmas_f32 v2, v2, v3, v4
	s_delay_alu instid0(VALU_DEP_1) | instskip(SKIP_1) | instid1(VALU_DEP_1)
	v_div_fixup_f32 v1, v2, v1, v13
	s_waitcnt lgkmcnt(0)
	v_add_f32_e32 v1, s0, v1
	s_delay_alu instid0(VALU_DEP_1) | instskip(SKIP_1) | instid1(VALU_DEP_2)
	v_mul_f32_e32 v2, 0x4b800000, v1
	v_cmp_gt_f32_e32 vcc_lo, 0x800000, v1
	v_cndmask_b32_e32 v1, v1, v2, vcc_lo
	s_delay_alu instid0(VALU_DEP_1) | instskip(SKIP_2) | instid1(VALU_DEP_1)
	v_rsq_f32_e32 v1, v1
	s_waitcnt_depctr 0xfff
	v_mul_f32_e32 v2, 0x45800000, v1
	v_dual_cndmask_b32 v1, v1, v2 :: v_dual_mov_b32 v2, 0
	ds_store_b32 v2, v1 offset:128
.LBB9_12:
	s_or_b32 exec_lo, exec_lo, s12
	s_waitcnt lgkmcnt(0)
	s_barrier
	buffer_gl0_inv
	s_and_saveexec_b32 s0, s2
	s_cbranch_execz .LBB9_95
; %bb.13:
	s_load_b32 s0, s[6:7], 0x0
	v_add_lshl_u32 v20, v0, s14, 3
	v_lshlrev_b32_e32 v21, 3, v9
	s_mov_b32 s2, 0
	v_mov_b32_e32 v11, 0
	ds_load_b32 v22, v11 offset:128
	v_mov_b32_e32 v10, v11
	s_delay_alu instid0(VALU_DEP_1) | instskip(SKIP_3) | instid1(VALU_DEP_2)
	v_lshlrev_b64 v[12:13], 4, v[9:10]
	s_waitcnt lgkmcnt(0)
	v_div_scale_f32 v1, null, s0, s0, 1.0
	v_div_scale_f32 v4, vcc_lo, 1.0, s0, 1.0
	v_rcp_f32_e32 v2, v1
	s_waitcnt_depctr 0xfff
	v_fma_f32 v3, -v1, v2, 1.0
	s_delay_alu instid0(VALU_DEP_1) | instskip(NEXT) | instid1(VALU_DEP_1)
	v_fmac_f32_e32 v2, v3, v2
	v_mul_f32_e32 v3, v4, v2
	s_delay_alu instid0(VALU_DEP_1) | instskip(NEXT) | instid1(VALU_DEP_1)
	v_fma_f32 v5, -v1, v3, v4
	v_fmac_f32_e32 v3, v5, v2
	s_delay_alu instid0(VALU_DEP_1) | instskip(SKIP_1) | instid1(VALU_DEP_2)
	v_fma_f32 v1, -v1, v3, v4
	v_lshlrev_b32_e32 v4, 4, v0
	v_div_fmas_f32 v1, v1, v2, v3
	s_delay_alu instid0(VALU_DEP_2) | instskip(NEXT) | instid1(VALU_DEP_1)
	v_add_co_u32 v2, s1, v4, s4
	v_add_co_ci_u32_e64 v3, null, 0, s5, s1
	s_delay_alu instid0(VALU_DEP_3) | instskip(NEXT) | instid1(VALU_DEP_3)
	v_div_fixup_f32 v23, v1, s0, 1.0
	v_add_co_u32 v14, vcc_lo, v2, 8
	s_delay_alu instid0(VALU_DEP_3)
	v_add_co_ci_u32_e32 v15, vcc_lo, 0, v3, vcc_lo
	s_mov_b32 s4, 0x43600000
	s_branch .LBB9_18
.LBB9_14:                               ;   in Loop: Header=BB9_18 Depth=1
	s_or_b32 exec_lo, exec_lo, s0
	s_delay_alu instid0(VALU_DEP_2) | instskip(NEXT) | instid1(VALU_DEP_2)
	v_lshrrev_b64 v[1:2], 20, v[1:2]
	v_cmp_gt_i32_e32 vcc_lo, 16, v4
	v_and_b32_e32 v3, 0x80, v3
	v_min_i32_e32 v5, 15, v4
	v_cmp_eq_u32_e64 s0, 0, v4
	v_dual_cndmask_b32 v2, 0, v2 :: v_dual_cndmask_b32 v1, 7, v1
	s_delay_alu instid0(VALU_DEP_3) | instskip(NEXT) | instid1(VALU_DEP_2)
	v_lshl_or_b32 v3, v5, 3, v3
	v_cmp_eq_u64_e32 vcc_lo, 0, v[1:2]
	s_delay_alu instid0(VALU_DEP_2)
	v_and_or_b32 v1, v1, 7, v3
	s_and_b32 s0, s0, vcc_lo
	s_delay_alu instid0(VALU_DEP_1) | instid1(SALU_CYCLE_1)
	v_cndmask_b32_e64 v1, v1, 0, s0
.LBB9_15:                               ;   in Loop: Header=BB9_18 Depth=1
	s_or_b32 exec_lo, exec_lo, s7
.LBB9_16:                               ;   in Loop: Header=BB9_18 Depth=1
	s_and_not1_saveexec_b32 s0, s6
	s_delay_alu instid0(SALU_CYCLE_1)
	s_or_b32 exec_lo, exec_lo, s0
.LBB9_17:                               ;   in Loop: Header=BB9_18 Depth=1
	s_and_not1_saveexec_b32 s0, s5
	s_delay_alu instid0(SALU_CYCLE_1) | instskip(SKIP_4) | instid1(VALU_DEP_4)
	s_or_b32 exec_lo, exec_lo, s0
	v_add_nc_u32_e32 v0, v0, v9
	v_add_co_u32 v14, s0, v14, v12
	v_add_nc_u32_e32 v20, v20, v21
	v_add_co_ci_u32_e64 v15, s0, v15, v13, s0
	v_cmp_le_i32_e32 vcc_lo, s3, v0
	global_store_b8 v[16:17], v1, off offset:7
	s_or_b32 s2, vcc_lo, s2
	s_delay_alu instid0(SALU_CYCLE_1)
	s_and_not1_b32 exec_lo, exec_lo, s2
	s_cbranch_execz .LBB9_95
.LBB9_18:                               ; =>This Inner Loop Header: Depth=1
	v_add_nc_u32_e32 v1, s14, v0
	s_mov_b32 s0, exec_lo
	s_delay_alu instid0(VALU_DEP_1) | instskip(NEXT) | instid1(VALU_DEP_1)
	v_ashrrev_i32_e32 v2, 31, v1
	v_lshlrev_b64 v[1:2], 4, v[1:2]
	s_delay_alu instid0(VALU_DEP_1) | instskip(NEXT) | instid1(VALU_DEP_2)
	v_add_co_u32 v1, vcc_lo, s8, v1
	v_add_co_ci_u32_e32 v2, vcc_lo, s9, v2, vcc_lo
	global_load_b128 v[1:4], v[1:2], off
	global_load_b128 v[5:8], v[14:15], off offset:-8
	s_waitcnt vmcnt(1)
	v_fma_mixlo_f16 v10, v22, v1, 0 op_sel_hi:[0,1,0]
	s_delay_alu instid0(VALU_DEP_1) | instskip(SKIP_1) | instid1(VALU_DEP_1)
	v_fma_mixhi_f16 v10, v22, v1, 0 op_sel:[0,1,0] op_sel_hi:[0,1,0]
	s_waitcnt vmcnt(0)
	v_pk_mul_f16 v1, v10, v5
	s_delay_alu instid0(VALU_DEP_1) | instskip(NEXT) | instid1(VALU_DEP_1)
	v_cvt_f32_f16_e32 v5, v1
	v_mul_f32_e32 v5, v23, v5
	s_delay_alu instid0(VALU_DEP_1) | instskip(NEXT) | instid1(VALU_DEP_1)
	v_minmax_f32 v16, v5, s4, 0xc3600000
	v_and_b32_e32 v10, 0x7f800000, v16
	v_lshrrev_b32_e32 v5, 24, v16
	s_delay_alu instid0(VALU_DEP_1) | instskip(NEXT) | instid1(VALU_DEP_3)
	v_or_b32_e32 v18, 0x7f, v5
	v_cmpx_ne_u64_e32 0x7f800000, v[10:11]
	s_xor_b32 s5, exec_lo, s0
	s_cbranch_execz .LBB9_28
; %bb.19:                               ;   in Loop: Header=BB9_18 Depth=1
	v_and_b32_e32 v10, 0x7fffffff, v16
	s_mov_b32 s0, exec_lo
	s_delay_alu instid0(VALU_DEP_1)
	v_cmpx_gt_u64_e32 0x43700001, v[10:11]
	s_xor_b32 s6, exec_lo, s0
	s_cbranch_execz .LBB9_27
; %bb.20:                               ;   in Loop: Header=BB9_18 Depth=1
	v_mov_b32_e32 v18, 0
	s_mov_b32 s7, exec_lo
	v_cmpx_ne_u32_e32 0, v16
	s_cbranch_execz .LBB9_26
; %bb.21:                               ;   in Loop: Header=BB9_18 Depth=1
	v_bfe_u32 v26, v16, 23, 8
	v_and_b32_e32 v16, 0x7fffff, v16
	s_delay_alu instid0(VALU_DEP_2) | instskip(SKIP_2) | instid1(VALU_DEP_3)
	v_sub_nc_u32_e64 v10, 0x78, v26 clamp
	v_cmp_eq_u32_e32 vcc_lo, 0, v26
	v_add_nc_u32_e32 v26, 0xffffff89, v26
	v_cndmask_b32_e64 v27, v10, 0x77, vcc_lo
	v_or_b32_e32 v10, 0x800000, v16
	s_delay_alu instid0(VALU_DEP_1) | instskip(SKIP_1) | instid1(VALU_DEP_2)
	v_dual_cndmask_b32 v10, v10, v16 :: v_dual_add_nc_u32 v17, 20, v27
	v_add_nc_u32_e32 v18, 19, v27
	v_lshlrev_b64 v[16:17], v17, -1
	s_delay_alu instid0(VALU_DEP_3) | instskip(NEXT) | instid1(VALU_DEP_3)
	v_lshrrev_b64 v[24:25], v27, v[10:11]
	v_lshlrev_b64 v[18:19], v18, 1
	v_mov_b32_e32 v17, v11
	s_delay_alu instid0(VALU_DEP_4) | instskip(NEXT) | instid1(VALU_DEP_1)
	v_not_b32_e32 v16, v16
	v_and_b32_e32 v16, v10, v16
	v_and_b32_e32 v10, 0x100000, v24
	s_delay_alu instid0(VALU_DEP_2) | instskip(NEXT) | instid1(VALU_DEP_2)
	v_cmp_eq_u64_e64 s0, v[16:17], v[18:19]
	v_cmp_eq_u64_e64 s1, 0, v[10:11]
	v_cndmask_b32_e64 v10, v26, 0xffffff8a, vcc_lo
	v_lshrrev_b32_e32 v16, 23, v24
	s_delay_alu instid0(VALU_DEP_3) | instskip(NEXT) | instid1(VALU_DEP_1)
	s_and_b32 vcc_lo, s1, s0
	v_add3_u32 v18, v10, v27, v16
	v_subrev_co_ci_u32_e32 v17, vcc_lo, 0, v24, vcc_lo
	s_mov_b32 s0, exec_lo
	s_delay_alu instid0(VALU_DEP_2) | instskip(NEXT) | instid1(VALU_DEP_2)
	v_add_nc_u32_e32 v19, -1, v18
	v_and_b32_e32 v10, 0xfffff, v17
	s_delay_alu instid0(VALU_DEP_1) | instskip(SKIP_1) | instid1(VALU_DEP_4)
	v_add_co_u32 v16, vcc_lo, v10, v24
	v_add_co_ci_u32_e32 v17, vcc_lo, 0, v25, vcc_lo
                                        ; implicit-def: $vgpr10
	v_cmpx_ne_u32_e32 0, v19
	s_xor_b32 s0, exec_lo, s0
; %bb.22:                               ;   in Loop: Header=BB9_18 Depth=1
	s_delay_alu instid0(VALU_DEP_3) | instskip(SKIP_1) | instid1(VALU_DEP_2)
	v_and_b32_e32 v10, 0x1000000, v16
	v_bfe_u32 v24, v16, 24, 1
	v_cmp_eq_u64_e32 vcc_lo, 0, v[10:11]
	s_delay_alu instid0(VALU_DEP_2)
	v_lshrrev_b64 v[16:17], v24, v[16:17]
	v_cndmask_b32_e32 v10, v18, v19, vcc_lo
; %bb.23:                               ;   in Loop: Header=BB9_18 Depth=1
	s_and_not1_saveexec_b32 s0, s0
; %bb.24:                               ;   in Loop: Header=BB9_18 Depth=1
	s_delay_alu instid0(VALU_DEP_2)
	v_bfe_u32 v10, v16, 23, 1
; %bb.25:                               ;   in Loop: Header=BB9_18 Depth=1
	s_or_b32 exec_lo, exec_lo, s0
	s_delay_alu instid0(VALU_DEP_3) | instskip(NEXT) | instid1(VALU_DEP_2)
	v_lshrrev_b64 v[16:17], 20, v[16:17]
	v_cmp_gt_i32_e32 vcc_lo, 16, v10
	v_and_b32_e32 v5, 0x80, v5
	v_min_i32_e32 v18, 15, v10
	v_cmp_eq_u32_e64 s0, 0, v10
	v_dual_cndmask_b32 v16, 7, v16 :: v_dual_cndmask_b32 v17, 0, v17
	s_delay_alu instid0(VALU_DEP_3) | instskip(NEXT) | instid1(VALU_DEP_2)
	v_lshl_or_b32 v5, v18, 3, v5
	v_cmp_eq_u64_e32 vcc_lo, 0, v[16:17]
	s_delay_alu instid0(VALU_DEP_2)
	v_and_or_b32 v5, v16, 7, v5
	s_and_b32 s0, s0, vcc_lo
	s_delay_alu instid0(VALU_DEP_1) | instid1(SALU_CYCLE_1)
	v_cndmask_b32_e64 v18, v5, 0, s0
.LBB9_26:                               ;   in Loop: Header=BB9_18 Depth=1
	s_or_b32 exec_lo, exec_lo, s7
.LBB9_27:                               ;   in Loop: Header=BB9_18 Depth=1
	s_and_not1_saveexec_b32 s0, s6
	s_delay_alu instid0(SALU_CYCLE_1)
	s_or_b32 exec_lo, exec_lo, s0
.LBB9_28:                               ;   in Loop: Header=BB9_18 Depth=1
	s_and_not1_saveexec_b32 s0, s5
	s_delay_alu instid0(SALU_CYCLE_1) | instskip(SKIP_4) | instid1(VALU_DEP_3)
	s_or_b32 exec_lo, exec_lo, s0
	v_lshrrev_b32_e32 v1, 16, v1
	v_ashrrev_i32_e32 v17, 31, v20
	v_add_co_u32 v16, vcc_lo, s10, v20
	s_mov_b32 s0, exec_lo
	v_cvt_f32_f16_e32 v1, v1
	s_delay_alu instid0(VALU_DEP_3) | instskip(NEXT) | instid1(VALU_DEP_2)
	v_add_co_ci_u32_e32 v17, vcc_lo, s11, v17, vcc_lo
	v_mul_f32_e32 v1, v23, v1
	global_store_b8 v[16:17], v18, off
	v_minmax_f32 v5, v1, s4, 0xc3600000
	s_delay_alu instid0(VALU_DEP_1) | instskip(SKIP_1) | instid1(VALU_DEP_2)
	v_lshrrev_b32_e32 v1, 24, v5
	v_and_b32_e32 v10, 0x7f800000, v5
	v_or_b32_e32 v19, 0x7f, v1
	s_delay_alu instid0(VALU_DEP_2)
	v_cmpx_ne_u64_e32 0x7f800000, v[10:11]
	s_xor_b32 s5, exec_lo, s0
	s_cbranch_execz .LBB9_38
; %bb.29:                               ;   in Loop: Header=BB9_18 Depth=1
	v_and_b32_e32 v10, 0x7fffffff, v5
	s_mov_b32 s0, exec_lo
	s_delay_alu instid0(VALU_DEP_1)
	v_cmpx_gt_u64_e32 0x43700001, v[10:11]
	s_xor_b32 s6, exec_lo, s0
	s_cbranch_execz .LBB9_37
; %bb.30:                               ;   in Loop: Header=BB9_18 Depth=1
	v_mov_b32_e32 v19, 0
	s_mov_b32 s7, exec_lo
	v_cmpx_ne_u32_e32 0, v5
	s_cbranch_execz .LBB9_36
; %bb.31:                               ;   in Loop: Header=BB9_18 Depth=1
	v_bfe_u32 v28, v5, 23, 8
	v_and_b32_e32 v5, 0x7fffff, v5
	s_delay_alu instid0(VALU_DEP_2) | instskip(SKIP_1) | instid1(VALU_DEP_2)
	v_sub_nc_u32_e64 v10, 0x78, v28 clamp
	v_cmp_eq_u32_e32 vcc_lo, 0, v28
	v_cndmask_b32_e64 v29, v10, 0x77, vcc_lo
	s_delay_alu instid0(VALU_DEP_4) | instskip(NEXT) | instid1(VALU_DEP_2)
	v_or_b32_e32 v10, 0x800000, v5
	v_add_nc_u32_e32 v18, 20, v29
	s_delay_alu instid0(VALU_DEP_2) | instskip(SKIP_1) | instid1(VALU_DEP_3)
	v_cndmask_b32_e32 v10, v10, v5, vcc_lo
	v_add_nc_u32_e32 v5, 19, v29
	v_lshlrev_b64 v[18:19], v18, -1
	v_mov_b32_e32 v19, v11
	s_delay_alu instid0(VALU_DEP_3) | instskip(SKIP_3) | instid1(VALU_DEP_3)
	v_lshlrev_b64 v[24:25], v5, 1
	v_add_nc_u32_e32 v5, 0xffffff89, v28
	v_lshrrev_b64 v[26:27], v29, v[10:11]
	v_not_b32_e32 v18, v18
	v_cndmask_b32_e64 v5, v5, 0xffffff8a, vcc_lo
	s_delay_alu instid0(VALU_DEP_2) | instskip(NEXT) | instid1(VALU_DEP_4)
	v_and_b32_e32 v18, v10, v18
	v_and_b32_e32 v10, 0x100000, v26
	s_delay_alu instid0(VALU_DEP_2) | instskip(NEXT) | instid1(VALU_DEP_2)
	v_cmp_eq_u64_e64 s0, v[18:19], v[24:25]
	v_cmp_eq_u64_e64 s1, 0, v[10:11]
	v_lshrrev_b32_e32 v10, 23, v26
	s_delay_alu instid0(VALU_DEP_1) | instskip(NEXT) | instid1(VALU_DEP_3)
	v_add3_u32 v24, v5, v29, v10
	s_and_b32 vcc_lo, s1, s0
	s_mov_b32 s0, exec_lo
	v_subrev_co_ci_u32_e32 v18, vcc_lo, 0, v26, vcc_lo
	s_delay_alu instid0(VALU_DEP_2) | instskip(NEXT) | instid1(VALU_DEP_2)
	v_add_nc_u32_e32 v25, -1, v24
	v_and_b32_e32 v5, 0xfffff, v18
	s_delay_alu instid0(VALU_DEP_1) | instskip(SKIP_1) | instid1(VALU_DEP_4)
	v_add_co_u32 v18, vcc_lo, v5, v26
	v_add_co_ci_u32_e32 v19, vcc_lo, 0, v27, vcc_lo
                                        ; implicit-def: $vgpr5
	v_cmpx_ne_u32_e32 0, v25
	s_xor_b32 s0, exec_lo, s0
; %bb.32:                               ;   in Loop: Header=BB9_18 Depth=1
	s_delay_alu instid0(VALU_DEP_3) | instskip(SKIP_1) | instid1(VALU_DEP_2)
	v_and_b32_e32 v10, 0x1000000, v18
	v_bfe_u32 v5, v18, 24, 1
	v_cmp_eq_u64_e32 vcc_lo, 0, v[10:11]
	s_delay_alu instid0(VALU_DEP_2)
	v_lshrrev_b64 v[18:19], v5, v[18:19]
	v_cndmask_b32_e32 v5, v24, v25, vcc_lo
; %bb.33:                               ;   in Loop: Header=BB9_18 Depth=1
	s_and_not1_saveexec_b32 s0, s0
; %bb.34:                               ;   in Loop: Header=BB9_18 Depth=1
	s_delay_alu instid0(VALU_DEP_2)
	v_bfe_u32 v5, v18, 23, 1
; %bb.35:                               ;   in Loop: Header=BB9_18 Depth=1
	s_or_b32 exec_lo, exec_lo, s0
	s_delay_alu instid0(VALU_DEP_3) | instskip(NEXT) | instid1(VALU_DEP_2)
	v_lshrrev_b64 v[18:19], 20, v[18:19]
	v_cmp_gt_i32_e32 vcc_lo, 16, v5
	v_and_b32_e32 v1, 0x80, v1
	v_min_i32_e32 v10, 15, v5
	v_cmp_eq_u32_e64 s0, 0, v5
	v_dual_cndmask_b32 v18, 7, v18 :: v_dual_cndmask_b32 v19, 0, v19
	s_delay_alu instid0(VALU_DEP_3) | instskip(NEXT) | instid1(VALU_DEP_2)
	v_lshl_or_b32 v1, v10, 3, v1
	v_cmp_eq_u64_e32 vcc_lo, 0, v[18:19]
	s_delay_alu instid0(VALU_DEP_2)
	v_and_or_b32 v1, v18, 7, v1
	s_and_b32 s0, s0, vcc_lo
	s_delay_alu instid0(VALU_DEP_1) | instid1(SALU_CYCLE_1)
	v_cndmask_b32_e64 v19, v1, 0, s0
.LBB9_36:                               ;   in Loop: Header=BB9_18 Depth=1
	s_or_b32 exec_lo, exec_lo, s7
.LBB9_37:                               ;   in Loop: Header=BB9_18 Depth=1
	s_and_not1_saveexec_b32 s0, s6
	s_delay_alu instid0(SALU_CYCLE_1)
	s_or_b32 exec_lo, exec_lo, s0
.LBB9_38:                               ;   in Loop: Header=BB9_18 Depth=1
	s_and_not1_saveexec_b32 s0, s5
	s_delay_alu instid0(SALU_CYCLE_1) | instskip(SKIP_4) | instid1(VALU_DEP_1)
	s_or_b32 exec_lo, exec_lo, s0
	v_fma_mixlo_f16 v1, v22, v2, 0 op_sel_hi:[0,1,0]
	global_store_b8 v[16:17], v19, off offset:1
	s_mov_b32 s0, exec_lo
	v_fma_mixhi_f16 v1, v22, v2, 0 op_sel:[0,1,0] op_sel_hi:[0,1,0]
	v_pk_mul_f16 v5, v1, v6
	s_delay_alu instid0(VALU_DEP_1) | instskip(NEXT) | instid1(VALU_DEP_1)
	v_cvt_f32_f16_e32 v1, v5
	v_mul_f32_e32 v1, v23, v1
	s_delay_alu instid0(VALU_DEP_1) | instskip(NEXT) | instid1(VALU_DEP_1)
	v_minmax_f32 v1, v1, s4, 0xc3600000
	v_lshrrev_b32_e32 v6, 24, v1
	v_and_b32_e32 v10, 0x7f800000, v1
	s_delay_alu instid0(VALU_DEP_2) | instskip(NEXT) | instid1(VALU_DEP_2)
	v_or_b32_e32 v2, 0x7f, v6
	v_cmpx_ne_u64_e32 0x7f800000, v[10:11]
	s_xor_b32 s5, exec_lo, s0
	s_cbranch_execz .LBB9_48
; %bb.39:                               ;   in Loop: Header=BB9_18 Depth=1
	v_and_b32_e32 v10, 0x7fffffff, v1
	s_mov_b32 s0, exec_lo
	s_delay_alu instid0(VALU_DEP_1)
	v_cmpx_gt_u64_e32 0x43700001, v[10:11]
	s_xor_b32 s6, exec_lo, s0
	s_cbranch_execz .LBB9_47
; %bb.40:                               ;   in Loop: Header=BB9_18 Depth=1
	v_mov_b32_e32 v2, 0
	s_mov_b32 s7, exec_lo
	v_cmpx_ne_u32_e32 0, v1
	s_cbranch_execz .LBB9_46
; %bb.41:                               ;   in Loop: Header=BB9_18 Depth=1
	v_bfe_u32 v26, v1, 23, 8
	v_and_b32_e32 v1, 0x7fffff, v1
	s_delay_alu instid0(VALU_DEP_2) | instskip(SKIP_2) | instid1(VALU_DEP_3)
	v_sub_nc_u32_e64 v2, 0x78, v26 clamp
	v_cmp_eq_u32_e32 vcc_lo, 0, v26
	v_add_nc_u32_e32 v26, 0xffffff89, v26
	v_cndmask_b32_e64 v27, v2, 0x77, vcc_lo
	v_or_b32_e32 v2, 0x800000, v1
	s_delay_alu instid0(VALU_DEP_2) | instskip(NEXT) | instid1(VALU_DEP_2)
	v_add_nc_u32_e32 v18, 20, v27
	v_cndmask_b32_e32 v10, v2, v1, vcc_lo
	s_delay_alu instid0(VALU_DEP_2) | instskip(SKIP_1) | instid1(VALU_DEP_3)
	v_lshlrev_b64 v[1:2], v18, -1
	v_add_nc_u32_e32 v18, 19, v27
	v_lshrrev_b64 v[24:25], v27, v[10:11]
	v_mov_b32_e32 v2, v11
	s_delay_alu instid0(VALU_DEP_3) | instskip(SKIP_1) | instid1(VALU_DEP_1)
	v_lshlrev_b64 v[18:19], v18, 1
	v_not_b32_e32 v1, v1
	v_and_b32_e32 v1, v10, v1
	v_and_b32_e32 v10, 0x100000, v24
	s_delay_alu instid0(VALU_DEP_2) | instskip(NEXT) | instid1(VALU_DEP_2)
	v_cmp_eq_u64_e64 s0, v[1:2], v[18:19]
	v_cmp_eq_u64_e64 s1, 0, v[10:11]
	v_cndmask_b32_e64 v1, v26, 0xffffff8a, vcc_lo
	v_lshrrev_b32_e32 v2, 23, v24
	s_delay_alu instid0(VALU_DEP_3) | instskip(NEXT) | instid1(VALU_DEP_1)
	s_and_b32 vcc_lo, s1, s0
	v_add3_u32 v18, v1, v27, v2
	v_subrev_co_ci_u32_e32 v10, vcc_lo, 0, v24, vcc_lo
	s_mov_b32 s0, exec_lo
	s_delay_alu instid0(VALU_DEP_2) | instskip(NEXT) | instid1(VALU_DEP_2)
	v_add_nc_u32_e32 v19, -1, v18
	v_and_b32_e32 v1, 0xfffff, v10
                                        ; implicit-def: $vgpr10
	s_delay_alu instid0(VALU_DEP_1) | instskip(SKIP_1) | instid1(VALU_DEP_4)
	v_add_co_u32 v1, vcc_lo, v1, v24
	v_add_co_ci_u32_e32 v2, vcc_lo, 0, v25, vcc_lo
	v_cmpx_ne_u32_e32 0, v19
	s_xor_b32 s0, exec_lo, s0
; %bb.42:                               ;   in Loop: Header=BB9_18 Depth=1
	s_delay_alu instid0(VALU_DEP_3) | instskip(SKIP_1) | instid1(VALU_DEP_2)
	v_and_b32_e32 v10, 0x1000000, v1
	v_bfe_u32 v24, v1, 24, 1
	v_cmp_eq_u64_e32 vcc_lo, 0, v[10:11]
	s_delay_alu instid0(VALU_DEP_2)
	v_lshrrev_b64 v[1:2], v24, v[1:2]
	v_cndmask_b32_e32 v10, v18, v19, vcc_lo
; %bb.43:                               ;   in Loop: Header=BB9_18 Depth=1
	s_and_not1_saveexec_b32 s0, s0
; %bb.44:                               ;   in Loop: Header=BB9_18 Depth=1
	s_delay_alu instid0(VALU_DEP_2)
	v_bfe_u32 v10, v1, 23, 1
; %bb.45:                               ;   in Loop: Header=BB9_18 Depth=1
	s_or_b32 exec_lo, exec_lo, s0
	s_delay_alu instid0(VALU_DEP_3) | instskip(NEXT) | instid1(VALU_DEP_2)
	v_lshrrev_b64 v[1:2], 20, v[1:2]
	v_cmp_gt_i32_e32 vcc_lo, 16, v10
	v_and_b32_e32 v6, 0x80, v6
	v_min_i32_e32 v18, 15, v10
	v_cmp_eq_u32_e64 s0, 0, v10
	v_dual_cndmask_b32 v1, 7, v1 :: v_dual_cndmask_b32 v2, 0, v2
	s_delay_alu instid0(VALU_DEP_3) | instskip(NEXT) | instid1(VALU_DEP_2)
	v_lshl_or_b32 v6, v18, 3, v6
	v_cmp_eq_u64_e32 vcc_lo, 0, v[1:2]
	s_delay_alu instid0(VALU_DEP_2)
	v_and_or_b32 v1, v1, 7, v6
	s_and_b32 s0, s0, vcc_lo
	s_delay_alu instid0(VALU_DEP_1) | instid1(SALU_CYCLE_1)
	v_cndmask_b32_e64 v2, v1, 0, s0
.LBB9_46:                               ;   in Loop: Header=BB9_18 Depth=1
	s_or_b32 exec_lo, exec_lo, s7
.LBB9_47:                               ;   in Loop: Header=BB9_18 Depth=1
	s_and_not1_saveexec_b32 s0, s6
	s_delay_alu instid0(SALU_CYCLE_1)
	s_or_b32 exec_lo, exec_lo, s0
.LBB9_48:                               ;   in Loop: Header=BB9_18 Depth=1
	s_and_not1_saveexec_b32 s0, s5
	s_delay_alu instid0(SALU_CYCLE_1) | instskip(SKIP_4) | instid1(VALU_DEP_1)
	s_or_b32 exec_lo, exec_lo, s0
	v_lshrrev_b32_e32 v1, 16, v5
	global_store_b8 v[16:17], v2, off offset:2
	s_mov_b32 s0, exec_lo
	v_cvt_f32_f16_e32 v1, v1
	v_mul_f32_e32 v1, v23, v1
	s_delay_alu instid0(VALU_DEP_1) | instskip(NEXT) | instid1(VALU_DEP_1)
	v_minmax_f32 v6, v1, s4, 0xc3600000
	v_and_b32_e32 v10, 0x7f800000, v6
	v_lshrrev_b32_e32 v5, 24, v6
	s_delay_alu instid0(VALU_DEP_1) | instskip(NEXT) | instid1(VALU_DEP_3)
	v_or_b32_e32 v1, 0x7f, v5
	v_cmpx_ne_u64_e32 0x7f800000, v[10:11]
	s_xor_b32 s5, exec_lo, s0
	s_cbranch_execz .LBB9_58
; %bb.49:                               ;   in Loop: Header=BB9_18 Depth=1
	v_and_b32_e32 v10, 0x7fffffff, v6
	s_mov_b32 s0, exec_lo
	s_delay_alu instid0(VALU_DEP_1)
	v_cmpx_gt_u64_e32 0x43700001, v[10:11]
	s_xor_b32 s6, exec_lo, s0
	s_cbranch_execz .LBB9_57
; %bb.50:                               ;   in Loop: Header=BB9_18 Depth=1
	v_mov_b32_e32 v1, 0
	s_mov_b32 s7, exec_lo
	v_cmpx_ne_u32_e32 0, v6
	s_cbranch_execz .LBB9_56
; %bb.51:                               ;   in Loop: Header=BB9_18 Depth=1
	v_bfe_u32 v26, v6, 23, 8
	v_and_b32_e32 v2, 0x7fffff, v6
	s_delay_alu instid0(VALU_DEP_2) | instskip(SKIP_2) | instid1(VALU_DEP_3)
	v_sub_nc_u32_e64 v1, 0x78, v26 clamp
	v_cmp_eq_u32_e32 vcc_lo, 0, v26
	v_add_nc_u32_e32 v26, 0xffffff89, v26
	v_cndmask_b32_e64 v6, v1, 0x77, vcc_lo
	v_or_b32_e32 v1, 0x800000, v2
	s_delay_alu instid0(VALU_DEP_2) | instskip(NEXT) | instid1(VALU_DEP_2)
	v_add_nc_u32_e32 v18, 20, v6
	v_cndmask_b32_e32 v10, v1, v2, vcc_lo
	s_delay_alu instid0(VALU_DEP_2) | instskip(SKIP_1) | instid1(VALU_DEP_3)
	v_lshlrev_b64 v[1:2], v18, -1
	v_add_nc_u32_e32 v18, 19, v6
	v_lshrrev_b64 v[24:25], v6, v[10:11]
	s_delay_alu instid0(VALU_DEP_2) | instskip(NEXT) | instid1(VALU_DEP_4)
	v_lshlrev_b64 v[18:19], v18, 1
	v_not_b32_e32 v1, v1
	s_delay_alu instid0(VALU_DEP_1) | instskip(NEXT) | instid1(VALU_DEP_4)
	v_dual_mov_b32 v2, v11 :: v_dual_and_b32 v1, v10, v1
	v_and_b32_e32 v10, 0x100000, v24
	s_delay_alu instid0(VALU_DEP_2) | instskip(NEXT) | instid1(VALU_DEP_2)
	v_cmp_eq_u64_e64 s0, v[1:2], v[18:19]
	v_cmp_eq_u64_e64 s1, 0, v[10:11]
	v_cndmask_b32_e64 v1, v26, 0xffffff8a, vcc_lo
	v_lshrrev_b32_e32 v2, 23, v24
	s_delay_alu instid0(VALU_DEP_3) | instskip(NEXT) | instid1(VALU_DEP_1)
	s_and_b32 vcc_lo, s1, s0
	v_add3_u32 v18, v1, v6, v2
	v_subrev_co_ci_u32_e32 v10, vcc_lo, 0, v24, vcc_lo
	s_mov_b32 s0, exec_lo
                                        ; implicit-def: $vgpr6
	s_delay_alu instid0(VALU_DEP_2) | instskip(NEXT) | instid1(VALU_DEP_2)
	v_add_nc_u32_e32 v19, -1, v18
	v_and_b32_e32 v1, 0xfffff, v10
	s_delay_alu instid0(VALU_DEP_1) | instskip(SKIP_1) | instid1(VALU_DEP_4)
	v_add_co_u32 v1, vcc_lo, v1, v24
	v_add_co_ci_u32_e32 v2, vcc_lo, 0, v25, vcc_lo
	v_cmpx_ne_u32_e32 0, v19
	s_xor_b32 s0, exec_lo, s0
; %bb.52:                               ;   in Loop: Header=BB9_18 Depth=1
	s_delay_alu instid0(VALU_DEP_3) | instskip(SKIP_1) | instid1(VALU_DEP_2)
	v_and_b32_e32 v10, 0x1000000, v1
	v_bfe_u32 v6, v1, 24, 1
	v_cmp_eq_u64_e32 vcc_lo, 0, v[10:11]
	s_delay_alu instid0(VALU_DEP_2)
	v_lshrrev_b64 v[1:2], v6, v[1:2]
	v_cndmask_b32_e32 v6, v18, v19, vcc_lo
; %bb.53:                               ;   in Loop: Header=BB9_18 Depth=1
	s_and_not1_saveexec_b32 s0, s0
; %bb.54:                               ;   in Loop: Header=BB9_18 Depth=1
	s_delay_alu instid0(VALU_DEP_2)
	v_bfe_u32 v6, v1, 23, 1
; %bb.55:                               ;   in Loop: Header=BB9_18 Depth=1
	s_or_b32 exec_lo, exec_lo, s0
	s_delay_alu instid0(VALU_DEP_3) | instskip(NEXT) | instid1(VALU_DEP_2)
	v_lshrrev_b64 v[1:2], 20, v[1:2]
	v_cmp_gt_i32_e32 vcc_lo, 16, v6
	v_and_b32_e32 v5, 0x80, v5
	v_min_i32_e32 v10, 15, v6
	v_cmp_eq_u32_e64 s0, 0, v6
	v_dual_cndmask_b32 v2, 0, v2 :: v_dual_cndmask_b32 v1, 7, v1
	s_delay_alu instid0(VALU_DEP_3) | instskip(NEXT) | instid1(VALU_DEP_2)
	v_lshl_or_b32 v5, v10, 3, v5
	v_cmp_eq_u64_e32 vcc_lo, 0, v[1:2]
	s_delay_alu instid0(VALU_DEP_2)
	v_and_or_b32 v1, v1, 7, v5
	s_and_b32 s0, s0, vcc_lo
	s_delay_alu instid0(VALU_DEP_1) | instid1(SALU_CYCLE_1)
	v_cndmask_b32_e64 v1, v1, 0, s0
.LBB9_56:                               ;   in Loop: Header=BB9_18 Depth=1
	s_or_b32 exec_lo, exec_lo, s7
.LBB9_57:                               ;   in Loop: Header=BB9_18 Depth=1
	s_and_not1_saveexec_b32 s0, s6
	s_delay_alu instid0(SALU_CYCLE_1)
	s_or_b32 exec_lo, exec_lo, s0
.LBB9_58:                               ;   in Loop: Header=BB9_18 Depth=1
	s_and_not1_saveexec_b32 s0, s5
	s_delay_alu instid0(SALU_CYCLE_1) | instskip(SKIP_4) | instid1(VALU_DEP_1)
	s_or_b32 exec_lo, exec_lo, s0
	v_fma_mixlo_f16 v2, v22, v3, 0 op_sel_hi:[0,1,0]
	global_store_b8 v[16:17], v1, off offset:3
	s_mov_b32 s0, exec_lo
	v_fma_mixhi_f16 v2, v22, v3, 0 op_sel:[0,1,0] op_sel_hi:[0,1,0]
	v_pk_mul_f16 v3, v2, v7
	s_delay_alu instid0(VALU_DEP_1) | instskip(NEXT) | instid1(VALU_DEP_1)
	v_cvt_f32_f16_e32 v2, v3
	v_mul_f32_e32 v2, v23, v2
	s_delay_alu instid0(VALU_DEP_1) | instskip(NEXT) | instid1(VALU_DEP_1)
	v_minmax_f32 v6, v2, s4, 0xc3600000
	v_lshrrev_b32_e32 v5, 24, v6
	v_and_b32_e32 v10, 0x7f800000, v6
	s_delay_alu instid0(VALU_DEP_2) | instskip(NEXT) | instid1(VALU_DEP_2)
	v_or_b32_e32 v2, 0x7f, v5
	v_cmpx_ne_u64_e32 0x7f800000, v[10:11]
	s_xor_b32 s5, exec_lo, s0
	s_cbranch_execz .LBB9_68
; %bb.59:                               ;   in Loop: Header=BB9_18 Depth=1
	v_and_b32_e32 v10, 0x7fffffff, v6
	s_mov_b32 s0, exec_lo
	s_delay_alu instid0(VALU_DEP_1)
	v_cmpx_gt_u64_e32 0x43700001, v[10:11]
	s_xor_b32 s6, exec_lo, s0
	s_cbranch_execz .LBB9_67
; %bb.60:                               ;   in Loop: Header=BB9_18 Depth=1
	v_mov_b32_e32 v2, 0
	s_mov_b32 s7, exec_lo
	v_cmpx_ne_u32_e32 0, v6
	s_cbranch_execz .LBB9_66
; %bb.61:                               ;   in Loop: Header=BB9_18 Depth=1
	v_bfe_u32 v18, v6, 23, 8
	v_and_b32_e32 v2, 0x7fffff, v6
	s_delay_alu instid0(VALU_DEP_2) | instskip(SKIP_2) | instid1(VALU_DEP_3)
	v_sub_nc_u32_e64 v1, 0x78, v18 clamp
	v_cmp_eq_u32_e32 vcc_lo, 0, v18
	v_add_nc_u32_e32 v18, 0xffffff89, v18
	v_cndmask_b32_e64 v19, v1, 0x77, vcc_lo
	v_or_b32_e32 v1, 0x800000, v2
	s_delay_alu instid0(VALU_DEP_2) | instskip(NEXT) | instid1(VALU_DEP_2)
	v_add_nc_u32_e32 v6, 20, v19
	v_cndmask_b32_e32 v10, v1, v2, vcc_lo
	s_delay_alu instid0(VALU_DEP_2) | instskip(SKIP_1) | instid1(VALU_DEP_3)
	v_lshlrev_b64 v[1:2], v6, -1
	v_add_nc_u32_e32 v6, 19, v19
	v_lshrrev_b64 v[24:25], v19, v[10:11]
	s_delay_alu instid0(VALU_DEP_2) | instskip(NEXT) | instid1(VALU_DEP_4)
	v_lshlrev_b64 v[6:7], v6, 1
	v_not_b32_e32 v1, v1
	s_delay_alu instid0(VALU_DEP_1) | instskip(NEXT) | instid1(VALU_DEP_4)
	v_dual_mov_b32 v2, v11 :: v_dual_and_b32 v1, v10, v1
	v_and_b32_e32 v10, 0x100000, v24
	s_delay_alu instid0(VALU_DEP_2) | instskip(NEXT) | instid1(VALU_DEP_2)
	v_cmp_eq_u64_e64 s0, v[1:2], v[6:7]
	v_cmp_eq_u64_e64 s1, 0, v[10:11]
	v_cndmask_b32_e64 v1, v18, 0xffffff8a, vcc_lo
	v_lshrrev_b32_e32 v2, 23, v24
	s_delay_alu instid0(VALU_DEP_3) | instskip(NEXT) | instid1(VALU_DEP_1)
	s_and_b32 vcc_lo, s1, s0
	v_add3_u32 v7, v1, v19, v2
	v_subrev_co_ci_u32_e32 v6, vcc_lo, 0, v24, vcc_lo
	s_mov_b32 s0, exec_lo
	s_delay_alu instid0(VALU_DEP_2) | instskip(NEXT) | instid1(VALU_DEP_2)
	v_add_nc_u32_e32 v18, -1, v7
	v_and_b32_e32 v1, 0xfffff, v6
                                        ; implicit-def: $vgpr6
	s_delay_alu instid0(VALU_DEP_1) | instskip(SKIP_1) | instid1(VALU_DEP_4)
	v_add_co_u32 v1, vcc_lo, v1, v24
	v_add_co_ci_u32_e32 v2, vcc_lo, 0, v25, vcc_lo
	v_cmpx_ne_u32_e32 0, v18
	s_xor_b32 s0, exec_lo, s0
; %bb.62:                               ;   in Loop: Header=BB9_18 Depth=1
	s_delay_alu instid0(VALU_DEP_3) | instskip(SKIP_1) | instid1(VALU_DEP_2)
	v_and_b32_e32 v10, 0x1000000, v1
	v_bfe_u32 v6, v1, 24, 1
	v_cmp_eq_u64_e32 vcc_lo, 0, v[10:11]
	s_delay_alu instid0(VALU_DEP_2)
	v_lshrrev_b64 v[1:2], v6, v[1:2]
	v_cndmask_b32_e32 v6, v7, v18, vcc_lo
; %bb.63:                               ;   in Loop: Header=BB9_18 Depth=1
	s_and_not1_saveexec_b32 s0, s0
; %bb.64:                               ;   in Loop: Header=BB9_18 Depth=1
	s_delay_alu instid0(VALU_DEP_2)
	v_bfe_u32 v6, v1, 23, 1
; %bb.65:                               ;   in Loop: Header=BB9_18 Depth=1
	s_or_b32 exec_lo, exec_lo, s0
	s_delay_alu instid0(VALU_DEP_3) | instskip(NEXT) | instid1(VALU_DEP_2)
	v_lshrrev_b64 v[1:2], 20, v[1:2]
	v_cmp_gt_i32_e32 vcc_lo, 16, v6
	v_and_b32_e32 v5, 0x80, v5
	v_min_i32_e32 v7, 15, v6
	v_cmp_eq_u32_e64 s0, 0, v6
	v_dual_cndmask_b32 v2, 0, v2 :: v_dual_cndmask_b32 v1, 7, v1
	s_delay_alu instid0(VALU_DEP_3) | instskip(NEXT) | instid1(VALU_DEP_2)
	v_lshl_or_b32 v5, v7, 3, v5
	v_cmp_eq_u64_e32 vcc_lo, 0, v[1:2]
	s_delay_alu instid0(VALU_DEP_2)
	v_and_or_b32 v1, v1, 7, v5
	s_and_b32 s0, s0, vcc_lo
	s_delay_alu instid0(VALU_DEP_1) | instid1(SALU_CYCLE_1)
	v_cndmask_b32_e64 v2, v1, 0, s0
.LBB9_66:                               ;   in Loop: Header=BB9_18 Depth=1
	s_or_b32 exec_lo, exec_lo, s7
.LBB9_67:                               ;   in Loop: Header=BB9_18 Depth=1
	s_and_not1_saveexec_b32 s0, s6
	s_delay_alu instid0(SALU_CYCLE_1)
	s_or_b32 exec_lo, exec_lo, s0
.LBB9_68:                               ;   in Loop: Header=BB9_18 Depth=1
	s_and_not1_saveexec_b32 s0, s5
	s_delay_alu instid0(SALU_CYCLE_1) | instskip(SKIP_4) | instid1(VALU_DEP_1)
	s_or_b32 exec_lo, exec_lo, s0
	v_lshrrev_b32_e32 v1, 16, v3
	global_store_b8 v[16:17], v2, off offset:4
	s_mov_b32 s0, exec_lo
	v_cvt_f32_f16_e32 v1, v1
	v_mul_f32_e32 v1, v23, v1
	s_delay_alu instid0(VALU_DEP_1) | instskip(NEXT) | instid1(VALU_DEP_1)
	v_minmax_f32 v5, v1, s4, 0xc3600000
	v_lshrrev_b32_e32 v3, 24, v5
	v_and_b32_e32 v10, 0x7f800000, v5
	s_delay_alu instid0(VALU_DEP_2) | instskip(NEXT) | instid1(VALU_DEP_2)
	v_or_b32_e32 v1, 0x7f, v3
	v_cmpx_ne_u64_e32 0x7f800000, v[10:11]
	s_xor_b32 s5, exec_lo, s0
	s_cbranch_execz .LBB9_78
; %bb.69:                               ;   in Loop: Header=BB9_18 Depth=1
	v_and_b32_e32 v10, 0x7fffffff, v5
	s_mov_b32 s0, exec_lo
	s_delay_alu instid0(VALU_DEP_1)
	v_cmpx_gt_u64_e32 0x43700001, v[10:11]
	s_xor_b32 s6, exec_lo, s0
	s_cbranch_execz .LBB9_77
; %bb.70:                               ;   in Loop: Header=BB9_18 Depth=1
	v_mov_b32_e32 v1, 0
	s_mov_b32 s7, exec_lo
	v_cmpx_ne_u32_e32 0, v5
	s_cbranch_execz .LBB9_76
; %bb.71:                               ;   in Loop: Header=BB9_18 Depth=1
	v_bfe_u32 v7, v5, 23, 8
	v_and_b32_e32 v2, 0x7fffff, v5
	s_delay_alu instid0(VALU_DEP_2) | instskip(SKIP_2) | instid1(VALU_DEP_3)
	v_sub_nc_u32_e64 v1, 0x78, v7 clamp
	v_cmp_eq_u32_e32 vcc_lo, 0, v7
	v_add_nc_u32_e32 v7, 0xffffff89, v7
	v_cndmask_b32_e64 v24, v1, 0x77, vcc_lo
	v_or_b32_e32 v1, 0x800000, v2
	s_delay_alu instid0(VALU_DEP_1) | instskip(NEXT) | instid1(VALU_DEP_1)
	v_dual_cndmask_b32 v10, v1, v2 :: v_dual_add_nc_u32 v5, 20, v24
	v_lshlrev_b64 v[1:2], v5, -1
	v_dual_mov_b32 v2, v11 :: v_dual_add_nc_u32 v5, 19, v24
	s_delay_alu instid0(VALU_DEP_3) | instskip(NEXT) | instid1(VALU_DEP_2)
	v_lshrrev_b64 v[18:19], v24, v[10:11]
	v_lshlrev_b64 v[5:6], v5, 1
	s_delay_alu instid0(VALU_DEP_4) | instskip(NEXT) | instid1(VALU_DEP_1)
	v_not_b32_e32 v1, v1
	v_and_b32_e32 v1, v10, v1
	s_delay_alu instid0(VALU_DEP_4) | instskip(NEXT) | instid1(VALU_DEP_2)
	v_and_b32_e32 v10, 0x100000, v18
	v_cmp_eq_u64_e64 s0, v[1:2], v[5:6]
	s_delay_alu instid0(VALU_DEP_2) | instskip(SKIP_2) | instid1(VALU_DEP_3)
	v_cmp_eq_u64_e64 s1, 0, v[10:11]
	v_cndmask_b32_e64 v1, v7, 0xffffff8a, vcc_lo
	v_lshrrev_b32_e32 v2, 23, v18
	s_and_b32 vcc_lo, s1, s0
	s_delay_alu instid0(VALU_DEP_1) | instskip(SKIP_2) | instid1(VALU_DEP_2)
	v_add3_u32 v6, v1, v24, v2
	v_subrev_co_ci_u32_e32 v5, vcc_lo, 0, v18, vcc_lo
	s_mov_b32 s0, exec_lo
	v_add_nc_u32_e32 v7, -1, v6
	s_delay_alu instid0(VALU_DEP_2) | instskip(NEXT) | instid1(VALU_DEP_1)
	v_and_b32_e32 v1, 0xfffff, v5
                                        ; implicit-def: $vgpr5
	v_add_co_u32 v1, vcc_lo, v1, v18
	v_add_co_ci_u32_e32 v2, vcc_lo, 0, v19, vcc_lo
	s_delay_alu instid0(VALU_DEP_4)
	v_cmpx_ne_u32_e32 0, v7
	s_xor_b32 s0, exec_lo, s0
; %bb.72:                               ;   in Loop: Header=BB9_18 Depth=1
	s_delay_alu instid0(VALU_DEP_3) | instskip(SKIP_1) | instid1(VALU_DEP_2)
	v_and_b32_e32 v10, 0x1000000, v1
	v_bfe_u32 v5, v1, 24, 1
	v_cmp_eq_u64_e32 vcc_lo, 0, v[10:11]
	s_delay_alu instid0(VALU_DEP_2)
	v_lshrrev_b64 v[1:2], v5, v[1:2]
	v_cndmask_b32_e32 v5, v6, v7, vcc_lo
; %bb.73:                               ;   in Loop: Header=BB9_18 Depth=1
	s_and_not1_saveexec_b32 s0, s0
; %bb.74:                               ;   in Loop: Header=BB9_18 Depth=1
	s_delay_alu instid0(VALU_DEP_2)
	v_bfe_u32 v5, v1, 23, 1
; %bb.75:                               ;   in Loop: Header=BB9_18 Depth=1
	s_or_b32 exec_lo, exec_lo, s0
	s_delay_alu instid0(VALU_DEP_3) | instskip(NEXT) | instid1(VALU_DEP_2)
	v_lshrrev_b64 v[1:2], 20, v[1:2]
	v_cmp_gt_i32_e32 vcc_lo, 16, v5
	v_and_b32_e32 v3, 0x80, v3
	v_min_i32_e32 v6, 15, v5
	v_cmp_eq_u32_e64 s0, 0, v5
	v_dual_cndmask_b32 v2, 0, v2 :: v_dual_cndmask_b32 v1, 7, v1
	s_delay_alu instid0(VALU_DEP_3) | instskip(NEXT) | instid1(VALU_DEP_2)
	v_lshl_or_b32 v3, v6, 3, v3
	v_cmp_eq_u64_e32 vcc_lo, 0, v[1:2]
	s_delay_alu instid0(VALU_DEP_2)
	v_and_or_b32 v1, v1, 7, v3
	s_and_b32 s0, s0, vcc_lo
	s_delay_alu instid0(VALU_DEP_1) | instid1(SALU_CYCLE_1)
	v_cndmask_b32_e64 v1, v1, 0, s0
.LBB9_76:                               ;   in Loop: Header=BB9_18 Depth=1
	s_or_b32 exec_lo, exec_lo, s7
.LBB9_77:                               ;   in Loop: Header=BB9_18 Depth=1
	s_and_not1_saveexec_b32 s0, s6
	s_delay_alu instid0(SALU_CYCLE_1)
	s_or_b32 exec_lo, exec_lo, s0
.LBB9_78:                               ;   in Loop: Header=BB9_18 Depth=1
	s_and_not1_saveexec_b32 s0, s5
	s_delay_alu instid0(SALU_CYCLE_1) | instskip(SKIP_4) | instid1(VALU_DEP_1)
	s_or_b32 exec_lo, exec_lo, s0
	v_fma_mixlo_f16 v2, v22, v4, 0 op_sel_hi:[0,1,0]
	global_store_b8 v[16:17], v1, off offset:5
	s_mov_b32 s0, exec_lo
	v_fma_mixhi_f16 v2, v22, v4, 0 op_sel:[0,1,0] op_sel_hi:[0,1,0]
	v_pk_mul_f16 v3, v2, v8
	s_delay_alu instid0(VALU_DEP_1) | instskip(NEXT) | instid1(VALU_DEP_1)
	v_cvt_f32_f16_e32 v2, v3
	v_mul_f32_e32 v2, v23, v2
	s_delay_alu instid0(VALU_DEP_1) | instskip(NEXT) | instid1(VALU_DEP_1)
	v_minmax_f32 v5, v2, s4, 0xc3600000
	v_lshrrev_b32_e32 v4, 24, v5
	v_and_b32_e32 v10, 0x7f800000, v5
	s_delay_alu instid0(VALU_DEP_2) | instskip(NEXT) | instid1(VALU_DEP_2)
	v_or_b32_e32 v2, 0x7f, v4
	v_cmpx_ne_u64_e32 0x7f800000, v[10:11]
	s_xor_b32 s5, exec_lo, s0
	s_cbranch_execz .LBB9_88
; %bb.79:                               ;   in Loop: Header=BB9_18 Depth=1
	v_and_b32_e32 v10, 0x7fffffff, v5
	s_mov_b32 s0, exec_lo
	s_delay_alu instid0(VALU_DEP_1)
	v_cmpx_gt_u64_e32 0x43700001, v[10:11]
	s_xor_b32 s6, exec_lo, s0
	s_cbranch_execz .LBB9_87
; %bb.80:                               ;   in Loop: Header=BB9_18 Depth=1
	v_mov_b32_e32 v2, 0
	s_mov_b32 s7, exec_lo
	v_cmpx_ne_u32_e32 0, v5
	s_cbranch_execz .LBB9_86
; %bb.81:                               ;   in Loop: Header=BB9_18 Depth=1
	v_bfe_u32 v7, v5, 23, 8
	v_and_b32_e32 v2, 0x7fffff, v5
	s_delay_alu instid0(VALU_DEP_2) | instskip(SKIP_2) | instid1(VALU_DEP_3)
	v_sub_nc_u32_e64 v1, 0x78, v7 clamp
	v_cmp_eq_u32_e32 vcc_lo, 0, v7
	v_add_nc_u32_e32 v7, 0xffffff89, v7
	v_cndmask_b32_e64 v8, v1, 0x77, vcc_lo
	v_or_b32_e32 v1, 0x800000, v2
	s_delay_alu instid0(VALU_DEP_1) | instskip(NEXT) | instid1(VALU_DEP_1)
	v_dual_cndmask_b32 v10, v1, v2 :: v_dual_add_nc_u32 v5, 20, v8
	v_lshlrev_b64 v[1:2], v5, -1
	v_dual_mov_b32 v2, v11 :: v_dual_add_nc_u32 v5, 19, v8
	s_delay_alu instid0(VALU_DEP_3) | instskip(NEXT) | instid1(VALU_DEP_2)
	v_lshrrev_b64 v[18:19], v8, v[10:11]
	v_lshlrev_b64 v[5:6], v5, 1
	s_delay_alu instid0(VALU_DEP_4) | instskip(NEXT) | instid1(VALU_DEP_1)
	v_not_b32_e32 v1, v1
	v_and_b32_e32 v1, v10, v1
	s_delay_alu instid0(VALU_DEP_4) | instskip(NEXT) | instid1(VALU_DEP_2)
	v_and_b32_e32 v10, 0x100000, v18
	v_cmp_eq_u64_e64 s0, v[1:2], v[5:6]
	s_delay_alu instid0(VALU_DEP_2) | instskip(SKIP_2) | instid1(VALU_DEP_3)
	v_cmp_eq_u64_e64 s1, 0, v[10:11]
	v_cndmask_b32_e64 v1, v7, 0xffffff8a, vcc_lo
	v_lshrrev_b32_e32 v2, 23, v18
	s_and_b32 vcc_lo, s1, s0
	s_delay_alu instid0(VALU_DEP_1) | instskip(SKIP_2) | instid1(VALU_DEP_2)
	v_add3_u32 v6, v1, v8, v2
	v_subrev_co_ci_u32_e32 v5, vcc_lo, 0, v18, vcc_lo
	s_mov_b32 s0, exec_lo
	v_add_nc_u32_e32 v7, -1, v6
	s_delay_alu instid0(VALU_DEP_2) | instskip(NEXT) | instid1(VALU_DEP_1)
	v_and_b32_e32 v1, 0xfffff, v5
                                        ; implicit-def: $vgpr5
	v_add_co_u32 v1, vcc_lo, v1, v18
	v_add_co_ci_u32_e32 v2, vcc_lo, 0, v19, vcc_lo
	s_delay_alu instid0(VALU_DEP_4)
	v_cmpx_ne_u32_e32 0, v7
	s_xor_b32 s0, exec_lo, s0
; %bb.82:                               ;   in Loop: Header=BB9_18 Depth=1
	s_delay_alu instid0(VALU_DEP_3) | instskip(SKIP_1) | instid1(VALU_DEP_2)
	v_and_b32_e32 v10, 0x1000000, v1
	v_bfe_u32 v5, v1, 24, 1
	v_cmp_eq_u64_e32 vcc_lo, 0, v[10:11]
	s_delay_alu instid0(VALU_DEP_2)
	v_lshrrev_b64 v[1:2], v5, v[1:2]
	v_cndmask_b32_e32 v5, v6, v7, vcc_lo
; %bb.83:                               ;   in Loop: Header=BB9_18 Depth=1
	s_and_not1_saveexec_b32 s0, s0
; %bb.84:                               ;   in Loop: Header=BB9_18 Depth=1
	s_delay_alu instid0(VALU_DEP_2)
	v_bfe_u32 v5, v1, 23, 1
; %bb.85:                               ;   in Loop: Header=BB9_18 Depth=1
	s_or_b32 exec_lo, exec_lo, s0
	s_delay_alu instid0(VALU_DEP_3) | instskip(NEXT) | instid1(VALU_DEP_2)
	v_lshrrev_b64 v[1:2], 20, v[1:2]
	v_cmp_gt_i32_e32 vcc_lo, 16, v5
	v_and_b32_e32 v4, 0x80, v4
	v_min_i32_e32 v6, 15, v5
	v_cmp_eq_u32_e64 s0, 0, v5
	v_dual_cndmask_b32 v1, 7, v1 :: v_dual_cndmask_b32 v2, 0, v2
	s_delay_alu instid0(VALU_DEP_3) | instskip(NEXT) | instid1(VALU_DEP_2)
	v_lshl_or_b32 v4, v6, 3, v4
	v_cmp_eq_u64_e32 vcc_lo, 0, v[1:2]
	s_delay_alu instid0(VALU_DEP_2)
	v_and_or_b32 v1, v1, 7, v4
	s_and_b32 s0, s0, vcc_lo
	s_delay_alu instid0(VALU_DEP_1) | instid1(SALU_CYCLE_1)
	v_cndmask_b32_e64 v2, v1, 0, s0
.LBB9_86:                               ;   in Loop: Header=BB9_18 Depth=1
	s_or_b32 exec_lo, exec_lo, s7
.LBB9_87:                               ;   in Loop: Header=BB9_18 Depth=1
	s_and_not1_saveexec_b32 s0, s6
	s_delay_alu instid0(SALU_CYCLE_1)
	s_or_b32 exec_lo, exec_lo, s0
.LBB9_88:                               ;   in Loop: Header=BB9_18 Depth=1
	s_and_not1_saveexec_b32 s0, s5
	s_delay_alu instid0(SALU_CYCLE_1) | instskip(SKIP_4) | instid1(VALU_DEP_1)
	s_or_b32 exec_lo, exec_lo, s0
	v_lshrrev_b32_e32 v1, 16, v3
	global_store_b8 v[16:17], v2, off offset:6
	s_mov_b32 s0, exec_lo
	v_cvt_f32_f16_e32 v1, v1
	v_mul_f32_e32 v1, v23, v1
	s_delay_alu instid0(VALU_DEP_1) | instskip(NEXT) | instid1(VALU_DEP_1)
	v_minmax_f32 v4, v1, s4, 0xc3600000
	v_and_b32_e32 v10, 0x7f800000, v4
	v_lshrrev_b32_e32 v3, 24, v4
	s_delay_alu instid0(VALU_DEP_1) | instskip(NEXT) | instid1(VALU_DEP_3)
	v_or_b32_e32 v1, 0x7f, v3
	v_cmpx_ne_u64_e32 0x7f800000, v[10:11]
	s_xor_b32 s5, exec_lo, s0
	s_cbranch_execz .LBB9_17
; %bb.89:                               ;   in Loop: Header=BB9_18 Depth=1
	v_and_b32_e32 v10, 0x7fffffff, v4
	s_mov_b32 s0, exec_lo
	s_delay_alu instid0(VALU_DEP_1)
	v_cmpx_gt_u64_e32 0x43700001, v[10:11]
	s_xor_b32 s6, exec_lo, s0
	s_cbranch_execz .LBB9_16
; %bb.90:                               ;   in Loop: Header=BB9_18 Depth=1
	v_mov_b32_e32 v1, 0
	s_mov_b32 s7, exec_lo
	v_cmpx_ne_u32_e32 0, v4
	s_cbranch_execz .LBB9_15
; %bb.91:                               ;   in Loop: Header=BB9_18 Depth=1
	v_bfe_u32 v6, v4, 23, 8
	v_and_b32_e32 v2, 0x7fffff, v4
	s_delay_alu instid0(VALU_DEP_2) | instskip(SKIP_2) | instid1(VALU_DEP_3)
	v_sub_nc_u32_e64 v1, 0x78, v6 clamp
	v_cmp_eq_u32_e32 vcc_lo, 0, v6
	v_add_nc_u32_e32 v6, 0xffffff89, v6
	v_cndmask_b32_e64 v18, v1, 0x77, vcc_lo
	v_or_b32_e32 v1, 0x800000, v2
	s_delay_alu instid0(VALU_DEP_2) | instskip(NEXT) | instid1(VALU_DEP_2)
	v_add_nc_u32_e32 v4, 20, v18
	v_cndmask_b32_e32 v10, v1, v2, vcc_lo
	s_delay_alu instid0(VALU_DEP_2) | instskip(SKIP_1) | instid1(VALU_DEP_3)
	v_lshlrev_b64 v[1:2], v4, -1
	v_add_nc_u32_e32 v4, 19, v18
	v_lshrrev_b64 v[7:8], v18, v[10:11]
	s_delay_alu instid0(VALU_DEP_2) | instskip(NEXT) | instid1(VALU_DEP_4)
	v_lshlrev_b64 v[4:5], v4, 1
	v_not_b32_e32 v1, v1
	s_delay_alu instid0(VALU_DEP_1) | instskip(NEXT) | instid1(VALU_DEP_4)
	v_dual_mov_b32 v2, v11 :: v_dual_and_b32 v1, v10, v1
	v_and_b32_e32 v10, 0x100000, v7
	s_delay_alu instid0(VALU_DEP_2) | instskip(NEXT) | instid1(VALU_DEP_2)
	v_cmp_eq_u64_e64 s0, v[1:2], v[4:5]
	v_cmp_eq_u64_e64 s1, 0, v[10:11]
	v_cndmask_b32_e64 v1, v6, 0xffffff8a, vcc_lo
	v_lshrrev_b32_e32 v2, 23, v7
	s_delay_alu instid0(VALU_DEP_3) | instskip(NEXT) | instid1(VALU_DEP_1)
	s_and_b32 vcc_lo, s1, s0
	v_add3_u32 v5, v1, v18, v2
	v_subrev_co_ci_u32_e32 v4, vcc_lo, 0, v7, vcc_lo
	s_mov_b32 s0, exec_lo
	s_delay_alu instid0(VALU_DEP_2) | instskip(NEXT) | instid1(VALU_DEP_2)
	v_add_nc_u32_e32 v6, -1, v5
	v_and_b32_e32 v1, 0xfffff, v4
                                        ; implicit-def: $vgpr4
	s_delay_alu instid0(VALU_DEP_1) | instskip(SKIP_1) | instid1(VALU_DEP_4)
	v_add_co_u32 v1, vcc_lo, v1, v7
	v_add_co_ci_u32_e32 v2, vcc_lo, 0, v8, vcc_lo
	v_cmpx_ne_u32_e32 0, v6
	s_xor_b32 s0, exec_lo, s0
; %bb.92:                               ;   in Loop: Header=BB9_18 Depth=1
	s_delay_alu instid0(VALU_DEP_3) | instskip(SKIP_1) | instid1(VALU_DEP_2)
	v_and_b32_e32 v10, 0x1000000, v1
	v_bfe_u32 v4, v1, 24, 1
	v_cmp_eq_u64_e32 vcc_lo, 0, v[10:11]
	s_delay_alu instid0(VALU_DEP_2)
	v_lshrrev_b64 v[1:2], v4, v[1:2]
	v_cndmask_b32_e32 v4, v5, v6, vcc_lo
; %bb.93:                               ;   in Loop: Header=BB9_18 Depth=1
	s_and_not1_saveexec_b32 s0, s0
	s_cbranch_execz .LBB9_14
; %bb.94:                               ;   in Loop: Header=BB9_18 Depth=1
	s_delay_alu instid0(VALU_DEP_2)
	v_bfe_u32 v4, v1, 23, 1
	s_branch .LBB9_14
.LBB9_95:
	s_nop 0
	s_sendmsg sendmsg(MSG_DEALLOC_VGPRS)
	s_endpgm
	.section	.rodata,"a",@progbits
	.p2align	6, 0x0
	.amdhsa_kernel _ZN4vllm42fused_add_rms_norm_static_fp8_quant_kernelIN3c104HalfELi8ENS1_15Float8_e4m3fnuzEEENSt9enable_ifIXaagtT0_Li0Esr12_typeConvertIT_EE6existsEvE4typeEPT1_PS5_iSA_PKS5_PKffii
		.amdhsa_group_segment_fixed_size 132
		.amdhsa_private_segment_fixed_size 0
		.amdhsa_kernarg_size 320
		.amdhsa_user_sgpr_count 15
		.amdhsa_user_sgpr_dispatch_ptr 0
		.amdhsa_user_sgpr_queue_ptr 0
		.amdhsa_user_sgpr_kernarg_segment_ptr 1
		.amdhsa_user_sgpr_dispatch_id 0
		.amdhsa_user_sgpr_private_segment_size 0
		.amdhsa_wavefront_size32 1
		.amdhsa_uses_dynamic_stack 0
		.amdhsa_enable_private_segment 0
		.amdhsa_system_sgpr_workgroup_id_x 1
		.amdhsa_system_sgpr_workgroup_id_y 0
		.amdhsa_system_sgpr_workgroup_id_z 0
		.amdhsa_system_sgpr_workgroup_info 0
		.amdhsa_system_vgpr_workitem_id 0
		.amdhsa_next_free_vgpr 30
		.amdhsa_next_free_sgpr 21
		.amdhsa_reserve_vcc 1
		.amdhsa_float_round_mode_32 0
		.amdhsa_float_round_mode_16_64 0
		.amdhsa_float_denorm_mode_32 3
		.amdhsa_float_denorm_mode_16_64 3
		.amdhsa_dx10_clamp 1
		.amdhsa_ieee_mode 1
		.amdhsa_fp16_overflow 0
		.amdhsa_workgroup_processor_mode 1
		.amdhsa_memory_ordered 1
		.amdhsa_forward_progress 0
		.amdhsa_shared_vgpr_count 0
		.amdhsa_exception_fp_ieee_invalid_op 0
		.amdhsa_exception_fp_denorm_src 0
		.amdhsa_exception_fp_ieee_div_zero 0
		.amdhsa_exception_fp_ieee_overflow 0
		.amdhsa_exception_fp_ieee_underflow 0
		.amdhsa_exception_fp_ieee_inexact 0
		.amdhsa_exception_int_div_zero 0
	.end_amdhsa_kernel
	.section	.text._ZN4vllm42fused_add_rms_norm_static_fp8_quant_kernelIN3c104HalfELi8ENS1_15Float8_e4m3fnuzEEENSt9enable_ifIXaagtT0_Li0Esr12_typeConvertIT_EE6existsEvE4typeEPT1_PS5_iSA_PKS5_PKffii,"axG",@progbits,_ZN4vllm42fused_add_rms_norm_static_fp8_quant_kernelIN3c104HalfELi8ENS1_15Float8_e4m3fnuzEEENSt9enable_ifIXaagtT0_Li0Esr12_typeConvertIT_EE6existsEvE4typeEPT1_PS5_iSA_PKS5_PKffii,comdat
.Lfunc_end9:
	.size	_ZN4vllm42fused_add_rms_norm_static_fp8_quant_kernelIN3c104HalfELi8ENS1_15Float8_e4m3fnuzEEENSt9enable_ifIXaagtT0_Li0Esr12_typeConvertIT_EE6existsEvE4typeEPT1_PS5_iSA_PKS5_PKffii, .Lfunc_end9-_ZN4vllm42fused_add_rms_norm_static_fp8_quant_kernelIN3c104HalfELi8ENS1_15Float8_e4m3fnuzEEENSt9enable_ifIXaagtT0_Li0Esr12_typeConvertIT_EE6existsEvE4typeEPT1_PS5_iSA_PKS5_PKffii
                                        ; -- End function
	.section	.AMDGPU.csdata,"",@progbits
; Kernel info:
; codeLenInByte = 6036
; NumSgprs: 23
; NumVgprs: 30
; ScratchSize: 0
; MemoryBound: 0
; FloatMode: 240
; IeeeMode: 1
; LDSByteSize: 132 bytes/workgroup (compile time only)
; SGPRBlocks: 2
; VGPRBlocks: 3
; NumSGPRsForWavesPerEU: 23
; NumVGPRsForWavesPerEU: 30
; Occupancy: 16
; WaveLimiterHint : 0
; COMPUTE_PGM_RSRC2:SCRATCH_EN: 0
; COMPUTE_PGM_RSRC2:USER_SGPR: 15
; COMPUTE_PGM_RSRC2:TRAP_HANDLER: 0
; COMPUTE_PGM_RSRC2:TGID_X_EN: 1
; COMPUTE_PGM_RSRC2:TGID_Y_EN: 0
; COMPUTE_PGM_RSRC2:TGID_Z_EN: 0
; COMPUTE_PGM_RSRC2:TIDIG_COMP_CNT: 0
	.section	.text._ZN4vllm42fused_add_rms_norm_static_fp8_quant_kernelIN3c108BFloat16ELi8ENS1_13Float8_e4m3fnEEENSt9enable_ifIXooeqT0_Li0Entsr12_typeConvertIT_EE6existsEvE4typeEPT1_PS5_iSA_PKS5_PKffii,"axG",@progbits,_ZN4vllm42fused_add_rms_norm_static_fp8_quant_kernelIN3c108BFloat16ELi8ENS1_13Float8_e4m3fnEEENSt9enable_ifIXooeqT0_Li0Entsr12_typeConvertIT_EE6existsEvE4typeEPT1_PS5_iSA_PKS5_PKffii,comdat
	.protected	_ZN4vllm42fused_add_rms_norm_static_fp8_quant_kernelIN3c108BFloat16ELi8ENS1_13Float8_e4m3fnEEENSt9enable_ifIXooeqT0_Li0Entsr12_typeConvertIT_EE6existsEvE4typeEPT1_PS5_iSA_PKS5_PKffii ; -- Begin function _ZN4vllm42fused_add_rms_norm_static_fp8_quant_kernelIN3c108BFloat16ELi8ENS1_13Float8_e4m3fnEEENSt9enable_ifIXooeqT0_Li0Entsr12_typeConvertIT_EE6existsEvE4typeEPT1_PS5_iSA_PKS5_PKffii
	.globl	_ZN4vllm42fused_add_rms_norm_static_fp8_quant_kernelIN3c108BFloat16ELi8ENS1_13Float8_e4m3fnEEENSt9enable_ifIXooeqT0_Li0Entsr12_typeConvertIT_EE6existsEvE4typeEPT1_PS5_iSA_PKS5_PKffii
	.p2align	8
	.type	_ZN4vllm42fused_add_rms_norm_static_fp8_quant_kernelIN3c108BFloat16ELi8ENS1_13Float8_e4m3fnEEENSt9enable_ifIXooeqT0_Li0Entsr12_typeConvertIT_EE6existsEvE4typeEPT1_PS5_iSA_PKS5_PKffii,@function
_ZN4vllm42fused_add_rms_norm_static_fp8_quant_kernelIN3c108BFloat16ELi8ENS1_13Float8_e4m3fnEEENSt9enable_ifIXooeqT0_Li0Entsr12_typeConvertIT_EE6existsEvE4typeEPT1_PS5_iSA_PKS5_PKffii: ; @_ZN4vllm42fused_add_rms_norm_static_fp8_quant_kernelIN3c108BFloat16ELi8ENS1_13Float8_e4m3fnEEENSt9enable_ifIXooeqT0_Li0Entsr12_typeConvertIT_EE6existsEvE4typeEPT1_PS5_iSA_PKS5_PKffii
; %bb.0:
	s_clause 0x1
	s_load_b32 s3, s[0:1], 0x38
	s_load_b64 s[8:9], s[0:1], 0x18
	s_mov_b32 s4, exec_lo
                                        ; implicit-def: $sgpr13
                                        ; implicit-def: $sgpr12
	s_waitcnt lgkmcnt(0)
	v_cmp_gt_i32_e64 s2, s3, v0
	v_cmpx_le_i32_e64 s3, v0
	s_xor_b32 s4, exec_lo, s4
	s_cbranch_execz .LBB10_2
; %bb.1:
	s_load_b32 s5, s[0:1], 0x4c
	s_mov_b32 s13, 0
	s_waitcnt lgkmcnt(0)
	s_and_b32 s12, s5, 0xffff
.LBB10_2:
	s_or_saveexec_b32 s16, s4
	s_clause 0x1
	s_load_b64 s[10:11], s[0:1], 0x0
	s_load_b128 s[4:7], s[0:1], 0x20
	v_dual_mov_b32 v3, s13 :: v_dual_mov_b32 v6, s12
	s_mul_i32 s14, s15, s3
	s_xor_b32 exec_lo, exec_lo, s16
	s_cbranch_execz .LBB10_6
; %bb.3:
	s_clause 0x2
	s_load_b32 s17, s[0:1], 0x10
	s_load_b32 s18, s[0:1], 0x4c
	s_load_b64 s[12:13], s[0:1], 0x8
	v_dual_mov_b32 v2, 0 :: v_dual_mov_b32 v3, 0
	v_mov_b32_e32 v4, v0
	s_waitcnt lgkmcnt(0)
	s_mul_i32 s17, s15, s17
	s_and_b32 s15, s18, 0xffff
	s_mov_b32 s18, 0
	s_set_inst_prefetch_distance 0x1
	.p2align	6
.LBB10_4:                               ; =>This Inner Loop Header: Depth=1
	v_add_nc_u32_e32 v1, s17, v4
	s_delay_alu instid0(VALU_DEP_1) | instskip(SKIP_2) | instid1(VALU_DEP_2)
	v_lshlrev_b64 v[5:6], 1, v[1:2]
	v_add_nc_u32_e32 v1, s14, v4
	v_add_nc_u32_e32 v4, s15, v4
	v_lshlrev_b64 v[7:8], 1, v[1:2]
	s_delay_alu instid0(VALU_DEP_4) | instskip(SKIP_1) | instid1(VALU_DEP_3)
	v_add_co_u32 v5, vcc_lo, s12, v5
	v_add_co_ci_u32_e32 v6, vcc_lo, s13, v6, vcc_lo
	v_add_co_u32 v7, vcc_lo, s8, v7
	s_delay_alu instid0(VALU_DEP_4)
	v_add_co_ci_u32_e32 v8, vcc_lo, s9, v8, vcc_lo
	global_load_u16 v1, v[5:6], off
	global_load_u16 v5, v[7:8], off
	s_waitcnt vmcnt(1)
	v_lshlrev_b32_e32 v1, 16, v1
	s_waitcnt vmcnt(0)
	v_lshlrev_b32_e32 v5, 16, v5
	s_delay_alu instid0(VALU_DEP_1) | instskip(NEXT) | instid1(VALU_DEP_1)
	v_add_f32_e32 v1, v1, v5
	v_bfe_u32 v5, v1, 16, 1
	v_cmp_o_f32_e32 vcc_lo, v1, v1
	s_delay_alu instid0(VALU_DEP_2) | instskip(NEXT) | instid1(VALU_DEP_1)
	v_add3_u32 v5, v1, v5, 0x7fff
	v_lshrrev_b32_e32 v5, 16, v5
	s_delay_alu instid0(VALU_DEP_1) | instskip(SKIP_1) | instid1(VALU_DEP_2)
	v_cndmask_b32_e32 v1, 0x7fc0, v5, vcc_lo
	v_cmp_le_i32_e32 vcc_lo, s3, v4
	v_lshlrev_b32_e32 v5, 16, v1
	s_or_b32 s18, vcc_lo, s18
	global_store_b16 v[7:8], v1, off
	v_fmac_f32_e32 v3, v5, v5
	s_and_not1_b32 exec_lo, exec_lo, s18
	s_cbranch_execnz .LBB10_4
; %bb.5:
	s_set_inst_prefetch_distance 0x2
	s_or_b32 exec_lo, exec_lo, s18
	v_mov_b32_e32 v6, s15
.LBB10_6:
	s_or_b32 exec_lo, exec_lo, s16
	v_mbcnt_lo_u32_b32 v1, -1, 0
	v_and_b32_e32 v4, 0x3e0, v0
	s_mov_b32 s12, exec_lo
	s_delay_alu instid0(VALU_DEP_2) | instskip(NEXT) | instid1(VALU_DEP_2)
	v_cmp_ne_u32_e32 vcc_lo, 31, v1
	v_sub_nc_u32_e64 v13, v6, v4 clamp
	v_add_nc_u32_e32 v4, 1, v1
	v_add_co_ci_u32_e32 v2, vcc_lo, 0, v1, vcc_lo
	v_cmp_gt_u32_e32 vcc_lo, 30, v1
	s_delay_alu instid0(VALU_DEP_2)
	v_lshlrev_b32_e32 v2, 2, v2
	v_cndmask_b32_e64 v7, 0, 1, vcc_lo
	v_cmp_lt_u32_e32 vcc_lo, v4, v13
	ds_bpermute_b32 v5, v2, v3
	s_waitcnt lgkmcnt(0)
	v_dual_add_f32 v8, v3, v5 :: v_dual_lshlrev_b32 v7, 1, v7
	s_delay_alu instid0(VALU_DEP_1) | instskip(NEXT) | instid1(VALU_DEP_2)
	v_add_lshl_u32 v5, v7, v1, 2
	v_cndmask_b32_e32 v8, v3, v8, vcc_lo
	v_cmp_gt_u32_e32 vcc_lo, 28, v1
	v_cndmask_b32_e64 v3, 0, 1, vcc_lo
	s_delay_alu instid0(VALU_DEP_1) | instskip(SKIP_3) | instid1(VALU_DEP_1)
	v_lshlrev_b32_e32 v9, 2, v3
	ds_bpermute_b32 v7, v5, v8
	s_waitcnt lgkmcnt(0)
	v_dual_add_f32 v10, v8, v7 :: v_dual_add_nc_u32 v3, 2, v1
	v_cmp_lt_u32_e32 vcc_lo, v3, v13
	v_add_lshl_u32 v7, v9, v1, 2
	s_delay_alu instid0(VALU_DEP_3) | instskip(SKIP_2) | instid1(VALU_DEP_1)
	v_cndmask_b32_e32 v10, v8, v10, vcc_lo
	v_cmp_gt_u32_e32 vcc_lo, 24, v1
	v_cndmask_b32_e64 v8, 0, 1, vcc_lo
	v_lshlrev_b32_e32 v11, 3, v8
	ds_bpermute_b32 v9, v7, v10
	v_add_nc_u32_e32 v8, 4, v1
	s_delay_alu instid0(VALU_DEP_1) | instskip(SKIP_3) | instid1(VALU_DEP_2)
	v_cmp_lt_u32_e32 vcc_lo, v8, v13
	s_waitcnt lgkmcnt(0)
	v_add_f32_e32 v12, v10, v9
	v_add_lshl_u32 v9, v11, v1, 2
	v_cndmask_b32_e32 v12, v10, v12, vcc_lo
	v_cmp_gt_u32_e32 vcc_lo, 16, v1
	ds_bpermute_b32 v11, v9, v12
	v_cndmask_b32_e64 v10, 0, 1, vcc_lo
	s_delay_alu instid0(VALU_DEP_1) | instskip(SKIP_1) | instid1(VALU_DEP_1)
	v_lshlrev_b32_e32 v14, 4, v10
	v_add_nc_u32_e32 v10, 8, v1
	v_cmp_lt_u32_e32 vcc_lo, v10, v13
	s_waitcnt lgkmcnt(0)
	v_add_f32_e32 v15, v12, v11
	v_add_lshl_u32 v11, v14, v1, 2
	s_delay_alu instid0(VALU_DEP_2)
	v_cndmask_b32_e32 v14, v12, v15, vcc_lo
	v_add_nc_u32_e32 v12, 16, v1
	ds_bpermute_b32 v15, v11, v14
	v_cmp_lt_u32_e32 vcc_lo, v12, v13
	s_waitcnt lgkmcnt(0)
	v_add_f32_e32 v15, v14, v15
	s_delay_alu instid0(VALU_DEP_1)
	v_cndmask_b32_e32 v13, v14, v15, vcc_lo
	v_cmpx_eq_u32_e32 0, v1
	s_cbranch_execz .LBB10_8
; %bb.7:
	v_lshrrev_b32_e32 v14, 3, v0
	s_delay_alu instid0(VALU_DEP_1)
	v_and_b32_e32 v14, 0x7c, v14
	ds_store_b32 v14, v13
.LBB10_8:
	s_or_b32 exec_lo, exec_lo, s12
	s_delay_alu instid0(SALU_CYCLE_1)
	s_mov_b32 s12, exec_lo
	s_waitcnt lgkmcnt(0)
	s_waitcnt_vscnt null, 0x0
	s_barrier
	buffer_gl0_inv
	v_cmpx_gt_u32_e32 32, v0
	s_cbranch_execz .LBB10_10
; %bb.9:
	v_lshlrev_b32_e32 v1, 2, v1
	v_add_nc_u32_e32 v13, 31, v6
	ds_load_b32 v1, v1
	v_lshrrev_b32_e32 v13, 5, v13
	s_delay_alu instid0(VALU_DEP_1) | instskip(SKIP_4) | instid1(VALU_DEP_1)
	v_cmp_lt_u32_e32 vcc_lo, v4, v13
	s_waitcnt lgkmcnt(0)
	ds_bpermute_b32 v2, v2, v1
	s_waitcnt lgkmcnt(0)
	v_add_f32_e32 v2, v1, v2
	v_cndmask_b32_e32 v1, v1, v2, vcc_lo
	v_cmp_lt_u32_e32 vcc_lo, v3, v13
	ds_bpermute_b32 v2, v5, v1
	s_waitcnt lgkmcnt(0)
	v_add_f32_e32 v2, v1, v2
	s_delay_alu instid0(VALU_DEP_1) | instskip(SKIP_4) | instid1(VALU_DEP_1)
	v_cndmask_b32_e32 v1, v1, v2, vcc_lo
	v_cmp_lt_u32_e32 vcc_lo, v8, v13
	ds_bpermute_b32 v2, v7, v1
	s_waitcnt lgkmcnt(0)
	v_add_f32_e32 v2, v1, v2
	v_cndmask_b32_e32 v1, v1, v2, vcc_lo
	v_cmp_lt_u32_e32 vcc_lo, v10, v13
	ds_bpermute_b32 v2, v9, v1
	s_waitcnt lgkmcnt(0)
	v_add_f32_e32 v2, v1, v2
	s_delay_alu instid0(VALU_DEP_1) | instskip(SKIP_4) | instid1(VALU_DEP_1)
	v_cndmask_b32_e32 v1, v1, v2, vcc_lo
	v_cmp_lt_u32_e32 vcc_lo, v12, v13
	ds_bpermute_b32 v2, v11, v1
	s_waitcnt lgkmcnt(0)
	v_add_f32_e32 v2, v1, v2
	v_cndmask_b32_e32 v13, v1, v2, vcc_lo
.LBB10_10:
	s_or_b32 exec_lo, exec_lo, s12
	s_delay_alu instid0(SALU_CYCLE_1)
	s_mov_b32 s12, exec_lo
	v_cmpx_eq_u32_e32 0, v0
	s_cbranch_execz .LBB10_12
; %bb.11:
	v_cvt_f32_i32_e32 v1, s3
	s_load_b32 s0, s[0:1], 0x30
	s_delay_alu instid0(VALU_DEP_1) | instskip(SKIP_1) | instid1(VALU_DEP_2)
	v_div_scale_f32 v2, null, v1, v1, v13
	v_div_scale_f32 v5, vcc_lo, v13, v1, v13
	v_rcp_f32_e32 v3, v2
	s_waitcnt_depctr 0xfff
	v_fma_f32 v4, -v2, v3, 1.0
	s_delay_alu instid0(VALU_DEP_1) | instskip(NEXT) | instid1(VALU_DEP_1)
	v_fmac_f32_e32 v3, v4, v3
	v_mul_f32_e32 v4, v5, v3
	s_delay_alu instid0(VALU_DEP_1) | instskip(NEXT) | instid1(VALU_DEP_1)
	v_fma_f32 v7, -v2, v4, v5
	v_fmac_f32_e32 v4, v7, v3
	s_delay_alu instid0(VALU_DEP_1) | instskip(NEXT) | instid1(VALU_DEP_1)
	v_fma_f32 v2, -v2, v4, v5
	v_div_fmas_f32 v2, v2, v3, v4
	s_delay_alu instid0(VALU_DEP_1) | instskip(SKIP_1) | instid1(VALU_DEP_1)
	v_div_fixup_f32 v1, v2, v1, v13
	s_waitcnt lgkmcnt(0)
	v_add_f32_e32 v1, s0, v1
	s_delay_alu instid0(VALU_DEP_1) | instskip(SKIP_1) | instid1(VALU_DEP_2)
	v_mul_f32_e32 v2, 0x4b800000, v1
	v_cmp_gt_f32_e32 vcc_lo, 0x800000, v1
	v_cndmask_b32_e32 v1, v1, v2, vcc_lo
	s_delay_alu instid0(VALU_DEP_1) | instskip(SKIP_2) | instid1(VALU_DEP_1)
	v_rsq_f32_e32 v1, v1
	s_waitcnt_depctr 0xfff
	v_mul_f32_e32 v2, 0x45800000, v1
	v_dual_cndmask_b32 v1, v1, v2 :: v_dual_mov_b32 v2, 0
	ds_store_b32 v2, v1 offset:128
.LBB10_12:
	s_or_b32 exec_lo, exec_lo, s12
	s_waitcnt lgkmcnt(0)
	s_barrier
	buffer_gl0_inv
	s_and_saveexec_b32 s0, s2
	s_cbranch_execz .LBB10_31
; %bb.13:
	s_load_b32 s0, s[6:7], 0x0
	s_mov_b32 s2, 0
	s_mov_b32 s6, 0x43e00000
	s_waitcnt lgkmcnt(0)
	v_div_scale_f32 v1, null, s0, s0, 1.0
	v_div_scale_f32 v4, vcc_lo, 1.0, s0, 1.0
	s_delay_alu instid0(VALU_DEP_2) | instskip(SKIP_2) | instid1(VALU_DEP_1)
	v_rcp_f32_e32 v2, v1
	s_waitcnt_depctr 0xfff
	v_fma_f32 v3, -v1, v2, 1.0
	v_dual_fmac_f32 v2, v3, v2 :: v_dual_mov_b32 v3, 0
	s_delay_alu instid0(VALU_DEP_1) | instskip(NEXT) | instid1(VALU_DEP_1)
	v_mul_f32_e32 v5, v4, v2
	v_fma_f32 v7, -v1, v5, v4
	s_delay_alu instid0(VALU_DEP_1) | instskip(SKIP_2) | instid1(VALU_DEP_1)
	v_fmac_f32_e32 v5, v7, v2
	ds_load_b32 v7, v3 offset:128
	v_fma_f32 v1, -v1, v5, v4
	v_div_fmas_f32 v1, v1, v2, v5
	s_delay_alu instid0(VALU_DEP_1)
	v_div_fixup_f32 v8, v1, s0, 1.0
	s_branch .LBB10_15
.LBB10_14:                              ;   in Loop: Header=BB10_15 Depth=1
	s_or_b32 exec_lo, exec_lo, s0
	v_add_nc_u32_e32 v0, v0, v6
	v_add_co_u32 v1, s0, s10, v2
	s_delay_alu instid0(VALU_DEP_1) | instskip(NEXT) | instid1(VALU_DEP_3)
	v_add_co_ci_u32_e64 v2, null, s11, 0, s0
	v_cmp_le_i32_e32 vcc_lo, s3, v0
	global_store_b8 v[1:2], v9, off
	s_or_b32 s2, vcc_lo, s2
	s_delay_alu instid0(SALU_CYCLE_1)
	s_and_not1_b32 exec_lo, exec_lo, s2
	s_cbranch_execz .LBB10_31
.LBB10_15:                              ; =>This Inner Loop Header: Depth=1
	v_add_nc_u32_e32 v2, s14, v0
	v_ashrrev_i32_e32 v1, 31, v0
	s_mov_b32 s0, exec_lo
	v_mov_b32_e32 v13, v3
	s_delay_alu instid0(VALU_DEP_3) | instskip(NEXT) | instid1(VALU_DEP_1)
	v_lshlrev_b64 v[4:5], 1, v[2:3]
	v_add_co_u32 v4, vcc_lo, s8, v4
	s_delay_alu instid0(VALU_DEP_2) | instskip(SKIP_2) | instid1(VALU_DEP_1)
	v_add_co_ci_u32_e32 v5, vcc_lo, s9, v5, vcc_lo
	global_load_u16 v9, v[4:5], off
	v_lshlrev_b64 v[4:5], 1, v[0:1]
	v_add_co_u32 v4, vcc_lo, s4, v4
	s_delay_alu instid0(VALU_DEP_2) | instskip(SKIP_4) | instid1(VALU_DEP_1)
	v_add_co_ci_u32_e32 v5, vcc_lo, s5, v5, vcc_lo
	global_load_u16 v1, v[4:5], off
	s_waitcnt vmcnt(1)
	v_lshlrev_b32_e32 v4, 16, v9
	s_waitcnt lgkmcnt(0)
	v_mul_f32_e32 v4, v7, v4
	s_delay_alu instid0(VALU_DEP_1) | instskip(SKIP_2) | instid1(VALU_DEP_2)
	v_bfe_u32 v5, v4, 16, 1
	s_waitcnt vmcnt(0)
	v_lshlrev_b32_e32 v1, 16, v1
	v_add3_u32 v5, v4, v5, 0x7fff
	s_delay_alu instid0(VALU_DEP_1) | instskip(SKIP_1) | instid1(VALU_DEP_2)
	v_and_b32_e32 v5, 0xffff0000, v5
	v_cmp_o_f32_e32 vcc_lo, v4, v4
	v_dual_cndmask_b32 v4, 0x7fc00000, v5 :: v_dual_mov_b32 v5, v3
	s_delay_alu instid0(VALU_DEP_1) | instskip(NEXT) | instid1(VALU_DEP_1)
	v_mul_f32_e32 v1, v4, v1
	v_bfe_u32 v4, v1, 16, 1
	v_cmp_o_f32_e32 vcc_lo, v1, v1
	s_delay_alu instid0(VALU_DEP_2) | instskip(NEXT) | instid1(VALU_DEP_1)
	v_add3_u32 v4, v1, v4, 0x7fff
	v_and_b32_e32 v4, 0xffff0000, v4
	s_delay_alu instid0(VALU_DEP_1) | instskip(NEXT) | instid1(VALU_DEP_1)
	v_cndmask_b32_e32 v1, 0x7fc00000, v4, vcc_lo
	v_mul_f32_e32 v1, v8, v1
	s_delay_alu instid0(VALU_DEP_1) | instskip(NEXT) | instid1(VALU_DEP_1)
	v_minmax_f32 v10, v1, s6, 0xc3e00000
	v_lshrrev_b32_e32 v11, 24, v10
	v_and_b32_e32 v12, 0x7f800000, v10
	v_and_b32_e32 v4, 0x7fffff, v10
	s_delay_alu instid0(VALU_DEP_3) | instskip(NEXT) | instid1(VALU_DEP_1)
	v_and_b32_e32 v1, 0x80, v11
	v_or_b32_e32 v9, 0x7e, v1
	s_delay_alu instid0(VALU_DEP_4)
	v_cmpx_ne_u64_e32 0x7f800000, v[12:13]
	s_xor_b32 s7, exec_lo, s0
	s_cbranch_execz .LBB10_29
; %bb.16:                               ;   in Loop: Header=BB10_15 Depth=1
	v_dual_mov_b32 v12, v3 :: v_dual_and_b32 v11, 0x7fffffff, v10
	s_mov_b32 s0, exec_lo
	s_delay_alu instid0(VALU_DEP_1)
	v_cmpx_gt_u64_e32 0x43e00001, v[11:12]
	s_xor_b32 s12, exec_lo, s0
	s_cbranch_execz .LBB10_28
; %bb.17:                               ;   in Loop: Header=BB10_15 Depth=1
	v_mov_b32_e32 v9, 0
	s_mov_b32 s13, exec_lo
	v_cmpx_ne_u32_e32 0, v10
	s_cbranch_execz .LBB10_27
; %bb.18:                               ;   in Loop: Header=BB10_15 Depth=1
	v_bfe_u32 v11, v10, 23, 8
	s_delay_alu instid0(VALU_DEP_1) | instskip(SKIP_2) | instid1(VALU_DEP_3)
	v_sub_nc_u32_e64 v9, 0x79, v11 clamp
	v_cmp_eq_u32_e32 vcc_lo, 0, v11
	v_add_nc_u32_e32 v11, 0xffffff88, v11
	v_cndmask_b32_e64 v16, v9, 0x78, vcc_lo
	v_or_b32_e32 v9, 0x800000, v4
	s_delay_alu instid0(VALU_DEP_2) | instskip(NEXT) | instid1(VALU_DEP_2)
	v_add_nc_u32_e32 v10, 20, v16
	v_cndmask_b32_e32 v4, v9, v4, vcc_lo
	v_add_nc_u32_e32 v14, 19, v16
	s_delay_alu instid0(VALU_DEP_3) | instskip(NEXT) | instid1(VALU_DEP_3)
	v_lshlrev_b64 v[9:10], v10, -1
	v_lshrrev_b64 v[12:13], v16, v[4:5]
	s_delay_alu instid0(VALU_DEP_3) | instskip(NEXT) | instid1(VALU_DEP_3)
	v_lshlrev_b64 v[14:15], v14, 1
	v_not_b32_e32 v5, v10
	s_delay_alu instid0(VALU_DEP_4) | instskip(NEXT) | instid1(VALU_DEP_4)
	v_not_b32_e32 v17, v9
	v_dual_mov_b32 v10, v3 :: v_dual_and_b32 v9, 0x100000, v12
	s_delay_alu instid0(VALU_DEP_3) | instskip(NEXT) | instid1(VALU_DEP_3)
	v_and_b32_e32 v5, 0, v5
	v_and_b32_e32 v4, v4, v17
	s_delay_alu instid0(VALU_DEP_3) | instskip(NEXT) | instid1(VALU_DEP_2)
	v_cmp_eq_u64_e64 s0, 0, v[9:10]
	v_cmp_eq_u64_e64 s1, v[4:5], v[14:15]
	v_cndmask_b32_e64 v4, v11, 0xffffff89, vcc_lo
	v_lshrrev_b32_e32 v5, 23, v12
	s_delay_alu instid0(VALU_DEP_3) | instskip(NEXT) | instid1(VALU_DEP_1)
	s_and_b32 vcc_lo, s0, s1
	v_add3_u32 v9, v4, v16, v5
	v_subrev_co_ci_u32_e32 v10, vcc_lo, 0, v12, vcc_lo
	s_mov_b32 s0, exec_lo
	s_delay_alu instid0(VALU_DEP_2) | instskip(NEXT) | instid1(VALU_DEP_2)
	v_add_nc_u32_e32 v11, -1, v9
	v_and_b32_e32 v4, 0xfffff, v10
                                        ; implicit-def: $vgpr10
	s_delay_alu instid0(VALU_DEP_1) | instskip(SKIP_1) | instid1(VALU_DEP_4)
	v_add_co_u32 v4, vcc_lo, v4, v12
	v_add_co_ci_u32_e32 v5, vcc_lo, 0, v13, vcc_lo
	v_cmpx_ne_u32_e32 0, v11
	s_xor_b32 s0, exec_lo, s0
; %bb.19:                               ;   in Loop: Header=BB10_15 Depth=1
	s_delay_alu instid0(VALU_DEP_3) | instskip(SKIP_1) | instid1(VALU_DEP_2)
	v_dual_mov_b32 v13, v3 :: v_dual_and_b32 v12, 0x1000000, v4
	v_bfe_u32 v10, v4, 24, 1
	v_cmp_eq_u64_e32 vcc_lo, 0, v[12:13]
	s_delay_alu instid0(VALU_DEP_2)
	v_lshrrev_b64 v[4:5], v10, v[4:5]
	v_cndmask_b32_e32 v10, v9, v11, vcc_lo
; %bb.20:                               ;   in Loop: Header=BB10_15 Depth=1
	s_and_not1_saveexec_b32 s0, s0
; %bb.21:                               ;   in Loop: Header=BB10_15 Depth=1
	s_delay_alu instid0(VALU_DEP_2)
	v_bfe_u32 v10, v4, 23, 1
; %bb.22:                               ;   in Loop: Header=BB10_15 Depth=1
	s_or_b32 exec_lo, exec_lo, s0
	s_delay_alu instid0(VALU_DEP_3) | instskip(NEXT) | instid1(VALU_DEP_2)
	v_lshrrev_b64 v[4:5], 20, v[4:5]
	v_cmp_gt_i32_e32 vcc_lo, 16, v10
	v_cmp_ne_u32_e64 s0, 0, v10
                                        ; implicit-def: $vgpr9
	s_delay_alu instid0(VALU_DEP_3) | instskip(NEXT) | instid1(VALU_DEP_1)
	v_dual_cndmask_b32 v5, 0, v5 :: v_dual_cndmask_b32 v4, 7, v4
	v_cmp_ne_u64_e32 vcc_lo, 0, v[4:5]
	s_delay_alu instid0(VALU_DEP_3) | instskip(NEXT) | instid1(SALU_CYCLE_1)
	s_or_b32 s0, s0, vcc_lo
	s_and_saveexec_b32 s1, s0
	s_delay_alu instid0(SALU_CYCLE_1)
	s_xor_b32 s0, exec_lo, s1
; %bb.23:                               ;   in Loop: Header=BB10_15 Depth=1
	v_min_i32_e32 v5, 15, v10
	s_delay_alu instid0(VALU_DEP_1) | instskip(NEXT) | instid1(VALU_DEP_1)
	v_lshl_or_b32 v1, v5, 3, v1
	v_and_or_b32 v9, v4, 7, v1
                                        ; implicit-def: $vgpr1
; %bb.24:                               ;   in Loop: Header=BB10_15 Depth=1
	s_and_not1_saveexec_b32 s0, s0
; %bb.25:                               ;   in Loop: Header=BB10_15 Depth=1
	v_mov_b32_e32 v9, v1
; %bb.26:                               ;   in Loop: Header=BB10_15 Depth=1
	s_or_b32 exec_lo, exec_lo, s0
.LBB10_27:                              ;   in Loop: Header=BB10_15 Depth=1
	s_delay_alu instid0(SALU_CYCLE_1)
	s_or_b32 exec_lo, exec_lo, s13
.LBB10_28:                              ;   in Loop: Header=BB10_15 Depth=1
	s_and_not1_saveexec_b32 s0, s12
	s_delay_alu instid0(SALU_CYCLE_1)
	s_or_b32 exec_lo, exec_lo, s0
                                        ; implicit-def: $vgpr11
                                        ; implicit-def: $vgpr4_vgpr5
.LBB10_29:                              ;   in Loop: Header=BB10_15 Depth=1
	s_and_not1_saveexec_b32 s0, s7
	s_cbranch_execz .LBB10_14
; %bb.30:                               ;   in Loop: Header=BB10_15 Depth=1
	v_cmp_eq_u64_e32 vcc_lo, 0, v[4:5]
	v_or_b32_e32 v1, 0x7f, v11
	s_delay_alu instid0(VALU_DEP_1)
	v_cndmask_b32_e32 v9, v1, v9, vcc_lo
	s_branch .LBB10_14
.LBB10_31:
	s_nop 0
	s_sendmsg sendmsg(MSG_DEALLOC_VGPRS)
	s_endpgm
	.section	.rodata,"a",@progbits
	.p2align	6, 0x0
	.amdhsa_kernel _ZN4vllm42fused_add_rms_norm_static_fp8_quant_kernelIN3c108BFloat16ELi8ENS1_13Float8_e4m3fnEEENSt9enable_ifIXooeqT0_Li0Entsr12_typeConvertIT_EE6existsEvE4typeEPT1_PS5_iSA_PKS5_PKffii
		.amdhsa_group_segment_fixed_size 132
		.amdhsa_private_segment_fixed_size 0
		.amdhsa_kernarg_size 320
		.amdhsa_user_sgpr_count 15
		.amdhsa_user_sgpr_dispatch_ptr 0
		.amdhsa_user_sgpr_queue_ptr 0
		.amdhsa_user_sgpr_kernarg_segment_ptr 1
		.amdhsa_user_sgpr_dispatch_id 0
		.amdhsa_user_sgpr_private_segment_size 0
		.amdhsa_wavefront_size32 1
		.amdhsa_uses_dynamic_stack 0
		.amdhsa_enable_private_segment 0
		.amdhsa_system_sgpr_workgroup_id_x 1
		.amdhsa_system_sgpr_workgroup_id_y 0
		.amdhsa_system_sgpr_workgroup_id_z 0
		.amdhsa_system_sgpr_workgroup_info 0
		.amdhsa_system_vgpr_workitem_id 0
		.amdhsa_next_free_vgpr 18
		.amdhsa_next_free_sgpr 19
		.amdhsa_reserve_vcc 1
		.amdhsa_float_round_mode_32 0
		.amdhsa_float_round_mode_16_64 0
		.amdhsa_float_denorm_mode_32 3
		.amdhsa_float_denorm_mode_16_64 3
		.amdhsa_dx10_clamp 1
		.amdhsa_ieee_mode 1
		.amdhsa_fp16_overflow 0
		.amdhsa_workgroup_processor_mode 1
		.amdhsa_memory_ordered 1
		.amdhsa_forward_progress 0
		.amdhsa_shared_vgpr_count 0
		.amdhsa_exception_fp_ieee_invalid_op 0
		.amdhsa_exception_fp_denorm_src 0
		.amdhsa_exception_fp_ieee_div_zero 0
		.amdhsa_exception_fp_ieee_overflow 0
		.amdhsa_exception_fp_ieee_underflow 0
		.amdhsa_exception_fp_ieee_inexact 0
		.amdhsa_exception_int_div_zero 0
	.end_amdhsa_kernel
	.section	.text._ZN4vllm42fused_add_rms_norm_static_fp8_quant_kernelIN3c108BFloat16ELi8ENS1_13Float8_e4m3fnEEENSt9enable_ifIXooeqT0_Li0Entsr12_typeConvertIT_EE6existsEvE4typeEPT1_PS5_iSA_PKS5_PKffii,"axG",@progbits,_ZN4vllm42fused_add_rms_norm_static_fp8_quant_kernelIN3c108BFloat16ELi8ENS1_13Float8_e4m3fnEEENSt9enable_ifIXooeqT0_Li0Entsr12_typeConvertIT_EE6existsEvE4typeEPT1_PS5_iSA_PKS5_PKffii,comdat
.Lfunc_end10:
	.size	_ZN4vllm42fused_add_rms_norm_static_fp8_quant_kernelIN3c108BFloat16ELi8ENS1_13Float8_e4m3fnEEENSt9enable_ifIXooeqT0_Li0Entsr12_typeConvertIT_EE6existsEvE4typeEPT1_PS5_iSA_PKS5_PKffii, .Lfunc_end10-_ZN4vllm42fused_add_rms_norm_static_fp8_quant_kernelIN3c108BFloat16ELi8ENS1_13Float8_e4m3fnEEENSt9enable_ifIXooeqT0_Li0Entsr12_typeConvertIT_EE6existsEvE4typeEPT1_PS5_iSA_PKS5_PKffii
                                        ; -- End function
	.section	.AMDGPU.csdata,"",@progbits
; Kernel info:
; codeLenInByte = 2144
; NumSgprs: 21
; NumVgprs: 18
; ScratchSize: 0
; MemoryBound: 0
; FloatMode: 240
; IeeeMode: 1
; LDSByteSize: 132 bytes/workgroup (compile time only)
; SGPRBlocks: 2
; VGPRBlocks: 2
; NumSGPRsForWavesPerEU: 21
; NumVGPRsForWavesPerEU: 18
; Occupancy: 16
; WaveLimiterHint : 0
; COMPUTE_PGM_RSRC2:SCRATCH_EN: 0
; COMPUTE_PGM_RSRC2:USER_SGPR: 15
; COMPUTE_PGM_RSRC2:TRAP_HANDLER: 0
; COMPUTE_PGM_RSRC2:TGID_X_EN: 1
; COMPUTE_PGM_RSRC2:TGID_Y_EN: 0
; COMPUTE_PGM_RSRC2:TGID_Z_EN: 0
; COMPUTE_PGM_RSRC2:TIDIG_COMP_CNT: 0
	.section	.text._ZN4vllm42fused_add_rms_norm_static_fp8_quant_kernelIN3c108BFloat16ELi8ENS1_15Float8_e4m3fnuzEEENSt9enable_ifIXooeqT0_Li0Entsr12_typeConvertIT_EE6existsEvE4typeEPT1_PS5_iSA_PKS5_PKffii,"axG",@progbits,_ZN4vllm42fused_add_rms_norm_static_fp8_quant_kernelIN3c108BFloat16ELi8ENS1_15Float8_e4m3fnuzEEENSt9enable_ifIXooeqT0_Li0Entsr12_typeConvertIT_EE6existsEvE4typeEPT1_PS5_iSA_PKS5_PKffii,comdat
	.protected	_ZN4vllm42fused_add_rms_norm_static_fp8_quant_kernelIN3c108BFloat16ELi8ENS1_15Float8_e4m3fnuzEEENSt9enable_ifIXooeqT0_Li0Entsr12_typeConvertIT_EE6existsEvE4typeEPT1_PS5_iSA_PKS5_PKffii ; -- Begin function _ZN4vllm42fused_add_rms_norm_static_fp8_quant_kernelIN3c108BFloat16ELi8ENS1_15Float8_e4m3fnuzEEENSt9enable_ifIXooeqT0_Li0Entsr12_typeConvertIT_EE6existsEvE4typeEPT1_PS5_iSA_PKS5_PKffii
	.globl	_ZN4vllm42fused_add_rms_norm_static_fp8_quant_kernelIN3c108BFloat16ELi8ENS1_15Float8_e4m3fnuzEEENSt9enable_ifIXooeqT0_Li0Entsr12_typeConvertIT_EE6existsEvE4typeEPT1_PS5_iSA_PKS5_PKffii
	.p2align	8
	.type	_ZN4vllm42fused_add_rms_norm_static_fp8_quant_kernelIN3c108BFloat16ELi8ENS1_15Float8_e4m3fnuzEEENSt9enable_ifIXooeqT0_Li0Entsr12_typeConvertIT_EE6existsEvE4typeEPT1_PS5_iSA_PKS5_PKffii,@function
_ZN4vllm42fused_add_rms_norm_static_fp8_quant_kernelIN3c108BFloat16ELi8ENS1_15Float8_e4m3fnuzEEENSt9enable_ifIXooeqT0_Li0Entsr12_typeConvertIT_EE6existsEvE4typeEPT1_PS5_iSA_PKS5_PKffii: ; @_ZN4vllm42fused_add_rms_norm_static_fp8_quant_kernelIN3c108BFloat16ELi8ENS1_15Float8_e4m3fnuzEEENSt9enable_ifIXooeqT0_Li0Entsr12_typeConvertIT_EE6existsEvE4typeEPT1_PS5_iSA_PKS5_PKffii
; %bb.0:
	s_clause 0x1
	s_load_b32 s3, s[0:1], 0x38
	s_load_b64 s[8:9], s[0:1], 0x18
	s_mov_b32 s4, exec_lo
                                        ; implicit-def: $sgpr13
                                        ; implicit-def: $sgpr12
	s_waitcnt lgkmcnt(0)
	v_cmp_gt_i32_e64 s2, s3, v0
	v_cmpx_le_i32_e64 s3, v0
	s_xor_b32 s4, exec_lo, s4
	s_cbranch_execz .LBB11_2
; %bb.1:
	s_load_b32 s5, s[0:1], 0x4c
	s_mov_b32 s13, 0
	s_waitcnt lgkmcnt(0)
	s_and_b32 s12, s5, 0xffff
.LBB11_2:
	s_or_saveexec_b32 s16, s4
	s_clause 0x1
	s_load_b64 s[10:11], s[0:1], 0x0
	s_load_b128 s[4:7], s[0:1], 0x20
	v_dual_mov_b32 v3, s13 :: v_dual_mov_b32 v6, s12
	s_mul_i32 s14, s15, s3
	s_xor_b32 exec_lo, exec_lo, s16
	s_cbranch_execz .LBB11_6
; %bb.3:
	s_clause 0x2
	s_load_b32 s17, s[0:1], 0x10
	s_load_b32 s18, s[0:1], 0x4c
	s_load_b64 s[12:13], s[0:1], 0x8
	v_dual_mov_b32 v2, 0 :: v_dual_mov_b32 v3, 0
	v_mov_b32_e32 v4, v0
	s_waitcnt lgkmcnt(0)
	s_mul_i32 s17, s15, s17
	s_and_b32 s15, s18, 0xffff
	s_mov_b32 s18, 0
	s_set_inst_prefetch_distance 0x1
	.p2align	6
.LBB11_4:                               ; =>This Inner Loop Header: Depth=1
	v_add_nc_u32_e32 v1, s17, v4
	s_delay_alu instid0(VALU_DEP_1) | instskip(SKIP_2) | instid1(VALU_DEP_2)
	v_lshlrev_b64 v[5:6], 1, v[1:2]
	v_add_nc_u32_e32 v1, s14, v4
	v_add_nc_u32_e32 v4, s15, v4
	v_lshlrev_b64 v[7:8], 1, v[1:2]
	s_delay_alu instid0(VALU_DEP_4) | instskip(SKIP_1) | instid1(VALU_DEP_3)
	v_add_co_u32 v5, vcc_lo, s12, v5
	v_add_co_ci_u32_e32 v6, vcc_lo, s13, v6, vcc_lo
	v_add_co_u32 v7, vcc_lo, s8, v7
	s_delay_alu instid0(VALU_DEP_4)
	v_add_co_ci_u32_e32 v8, vcc_lo, s9, v8, vcc_lo
	global_load_u16 v1, v[5:6], off
	global_load_u16 v5, v[7:8], off
	s_waitcnt vmcnt(1)
	v_lshlrev_b32_e32 v1, 16, v1
	s_waitcnt vmcnt(0)
	v_lshlrev_b32_e32 v5, 16, v5
	s_delay_alu instid0(VALU_DEP_1) | instskip(NEXT) | instid1(VALU_DEP_1)
	v_add_f32_e32 v1, v1, v5
	v_bfe_u32 v5, v1, 16, 1
	v_cmp_o_f32_e32 vcc_lo, v1, v1
	s_delay_alu instid0(VALU_DEP_2) | instskip(NEXT) | instid1(VALU_DEP_1)
	v_add3_u32 v5, v1, v5, 0x7fff
	v_lshrrev_b32_e32 v5, 16, v5
	s_delay_alu instid0(VALU_DEP_1) | instskip(SKIP_1) | instid1(VALU_DEP_2)
	v_cndmask_b32_e32 v1, 0x7fc0, v5, vcc_lo
	v_cmp_le_i32_e32 vcc_lo, s3, v4
	v_lshlrev_b32_e32 v5, 16, v1
	s_or_b32 s18, vcc_lo, s18
	global_store_b16 v[7:8], v1, off
	v_fmac_f32_e32 v3, v5, v5
	s_and_not1_b32 exec_lo, exec_lo, s18
	s_cbranch_execnz .LBB11_4
; %bb.5:
	s_set_inst_prefetch_distance 0x2
	s_or_b32 exec_lo, exec_lo, s18
	v_mov_b32_e32 v6, s15
.LBB11_6:
	s_or_b32 exec_lo, exec_lo, s16
	v_mbcnt_lo_u32_b32 v1, -1, 0
	v_and_b32_e32 v4, 0x3e0, v0
	s_mov_b32 s12, exec_lo
	s_delay_alu instid0(VALU_DEP_2) | instskip(NEXT) | instid1(VALU_DEP_2)
	v_cmp_ne_u32_e32 vcc_lo, 31, v1
	v_sub_nc_u32_e64 v13, v6, v4 clamp
	v_add_nc_u32_e32 v4, 1, v1
	v_add_co_ci_u32_e32 v2, vcc_lo, 0, v1, vcc_lo
	v_cmp_gt_u32_e32 vcc_lo, 30, v1
	s_delay_alu instid0(VALU_DEP_2)
	v_lshlrev_b32_e32 v2, 2, v2
	v_cndmask_b32_e64 v7, 0, 1, vcc_lo
	v_cmp_lt_u32_e32 vcc_lo, v4, v13
	ds_bpermute_b32 v5, v2, v3
	s_waitcnt lgkmcnt(0)
	v_dual_add_f32 v8, v3, v5 :: v_dual_lshlrev_b32 v7, 1, v7
	s_delay_alu instid0(VALU_DEP_1) | instskip(NEXT) | instid1(VALU_DEP_2)
	v_add_lshl_u32 v5, v7, v1, 2
	v_cndmask_b32_e32 v8, v3, v8, vcc_lo
	v_cmp_gt_u32_e32 vcc_lo, 28, v1
	v_cndmask_b32_e64 v3, 0, 1, vcc_lo
	s_delay_alu instid0(VALU_DEP_1) | instskip(SKIP_3) | instid1(VALU_DEP_1)
	v_lshlrev_b32_e32 v9, 2, v3
	ds_bpermute_b32 v7, v5, v8
	s_waitcnt lgkmcnt(0)
	v_dual_add_f32 v10, v8, v7 :: v_dual_add_nc_u32 v3, 2, v1
	v_cmp_lt_u32_e32 vcc_lo, v3, v13
	v_add_lshl_u32 v7, v9, v1, 2
	s_delay_alu instid0(VALU_DEP_3) | instskip(SKIP_2) | instid1(VALU_DEP_1)
	v_cndmask_b32_e32 v10, v8, v10, vcc_lo
	v_cmp_gt_u32_e32 vcc_lo, 24, v1
	v_cndmask_b32_e64 v8, 0, 1, vcc_lo
	v_lshlrev_b32_e32 v11, 3, v8
	ds_bpermute_b32 v9, v7, v10
	v_add_nc_u32_e32 v8, 4, v1
	s_delay_alu instid0(VALU_DEP_1) | instskip(SKIP_3) | instid1(VALU_DEP_2)
	v_cmp_lt_u32_e32 vcc_lo, v8, v13
	s_waitcnt lgkmcnt(0)
	v_add_f32_e32 v12, v10, v9
	v_add_lshl_u32 v9, v11, v1, 2
	v_cndmask_b32_e32 v12, v10, v12, vcc_lo
	v_cmp_gt_u32_e32 vcc_lo, 16, v1
	ds_bpermute_b32 v11, v9, v12
	v_cndmask_b32_e64 v10, 0, 1, vcc_lo
	s_delay_alu instid0(VALU_DEP_1) | instskip(SKIP_1) | instid1(VALU_DEP_1)
	v_lshlrev_b32_e32 v14, 4, v10
	v_add_nc_u32_e32 v10, 8, v1
	v_cmp_lt_u32_e32 vcc_lo, v10, v13
	s_waitcnt lgkmcnt(0)
	v_add_f32_e32 v15, v12, v11
	v_add_lshl_u32 v11, v14, v1, 2
	s_delay_alu instid0(VALU_DEP_2)
	v_cndmask_b32_e32 v14, v12, v15, vcc_lo
	v_add_nc_u32_e32 v12, 16, v1
	ds_bpermute_b32 v15, v11, v14
	v_cmp_lt_u32_e32 vcc_lo, v12, v13
	s_waitcnt lgkmcnt(0)
	v_add_f32_e32 v15, v14, v15
	s_delay_alu instid0(VALU_DEP_1)
	v_cndmask_b32_e32 v13, v14, v15, vcc_lo
	v_cmpx_eq_u32_e32 0, v1
	s_cbranch_execz .LBB11_8
; %bb.7:
	v_lshrrev_b32_e32 v14, 3, v0
	s_delay_alu instid0(VALU_DEP_1)
	v_and_b32_e32 v14, 0x7c, v14
	ds_store_b32 v14, v13
.LBB11_8:
	s_or_b32 exec_lo, exec_lo, s12
	s_delay_alu instid0(SALU_CYCLE_1)
	s_mov_b32 s12, exec_lo
	s_waitcnt lgkmcnt(0)
	s_waitcnt_vscnt null, 0x0
	s_barrier
	buffer_gl0_inv
	v_cmpx_gt_u32_e32 32, v0
	s_cbranch_execz .LBB11_10
; %bb.9:
	v_lshlrev_b32_e32 v1, 2, v1
	v_add_nc_u32_e32 v13, 31, v6
	ds_load_b32 v1, v1
	v_lshrrev_b32_e32 v13, 5, v13
	s_delay_alu instid0(VALU_DEP_1) | instskip(SKIP_4) | instid1(VALU_DEP_1)
	v_cmp_lt_u32_e32 vcc_lo, v4, v13
	s_waitcnt lgkmcnt(0)
	ds_bpermute_b32 v2, v2, v1
	s_waitcnt lgkmcnt(0)
	v_add_f32_e32 v2, v1, v2
	v_cndmask_b32_e32 v1, v1, v2, vcc_lo
	v_cmp_lt_u32_e32 vcc_lo, v3, v13
	ds_bpermute_b32 v2, v5, v1
	s_waitcnt lgkmcnt(0)
	v_add_f32_e32 v2, v1, v2
	s_delay_alu instid0(VALU_DEP_1) | instskip(SKIP_4) | instid1(VALU_DEP_1)
	v_cndmask_b32_e32 v1, v1, v2, vcc_lo
	v_cmp_lt_u32_e32 vcc_lo, v8, v13
	ds_bpermute_b32 v2, v7, v1
	s_waitcnt lgkmcnt(0)
	v_add_f32_e32 v2, v1, v2
	v_cndmask_b32_e32 v1, v1, v2, vcc_lo
	v_cmp_lt_u32_e32 vcc_lo, v10, v13
	ds_bpermute_b32 v2, v9, v1
	s_waitcnt lgkmcnt(0)
	v_add_f32_e32 v2, v1, v2
	s_delay_alu instid0(VALU_DEP_1) | instskip(SKIP_4) | instid1(VALU_DEP_1)
	v_cndmask_b32_e32 v1, v1, v2, vcc_lo
	v_cmp_lt_u32_e32 vcc_lo, v12, v13
	ds_bpermute_b32 v2, v11, v1
	s_waitcnt lgkmcnt(0)
	v_add_f32_e32 v2, v1, v2
	v_cndmask_b32_e32 v13, v1, v2, vcc_lo
.LBB11_10:
	s_or_b32 exec_lo, exec_lo, s12
	s_delay_alu instid0(SALU_CYCLE_1)
	s_mov_b32 s12, exec_lo
	v_cmpx_eq_u32_e32 0, v0
	s_cbranch_execz .LBB11_12
; %bb.11:
	v_cvt_f32_i32_e32 v1, s3
	s_load_b32 s0, s[0:1], 0x30
	s_delay_alu instid0(VALU_DEP_1) | instskip(SKIP_1) | instid1(VALU_DEP_2)
	v_div_scale_f32 v2, null, v1, v1, v13
	v_div_scale_f32 v5, vcc_lo, v13, v1, v13
	v_rcp_f32_e32 v3, v2
	s_waitcnt_depctr 0xfff
	v_fma_f32 v4, -v2, v3, 1.0
	s_delay_alu instid0(VALU_DEP_1) | instskip(NEXT) | instid1(VALU_DEP_1)
	v_fmac_f32_e32 v3, v4, v3
	v_mul_f32_e32 v4, v5, v3
	s_delay_alu instid0(VALU_DEP_1) | instskip(NEXT) | instid1(VALU_DEP_1)
	v_fma_f32 v7, -v2, v4, v5
	v_fmac_f32_e32 v4, v7, v3
	s_delay_alu instid0(VALU_DEP_1) | instskip(NEXT) | instid1(VALU_DEP_1)
	v_fma_f32 v2, -v2, v4, v5
	v_div_fmas_f32 v2, v2, v3, v4
	s_delay_alu instid0(VALU_DEP_1) | instskip(SKIP_1) | instid1(VALU_DEP_1)
	v_div_fixup_f32 v1, v2, v1, v13
	s_waitcnt lgkmcnt(0)
	v_add_f32_e32 v1, s0, v1
	s_delay_alu instid0(VALU_DEP_1) | instskip(SKIP_1) | instid1(VALU_DEP_2)
	v_mul_f32_e32 v2, 0x4b800000, v1
	v_cmp_gt_f32_e32 vcc_lo, 0x800000, v1
	v_cndmask_b32_e32 v1, v1, v2, vcc_lo
	s_delay_alu instid0(VALU_DEP_1) | instskip(SKIP_2) | instid1(VALU_DEP_1)
	v_rsq_f32_e32 v1, v1
	s_waitcnt_depctr 0xfff
	v_mul_f32_e32 v2, 0x45800000, v1
	v_dual_cndmask_b32 v1, v1, v2 :: v_dual_mov_b32 v2, 0
	ds_store_b32 v2, v1 offset:128
.LBB11_12:
	s_or_b32 exec_lo, exec_lo, s12
	s_waitcnt lgkmcnt(0)
	s_barrier
	buffer_gl0_inv
	s_and_saveexec_b32 s0, s2
	s_cbranch_execz .LBB11_25
; %bb.13:
	s_load_b32 s0, s[6:7], 0x0
	s_mov_b32 s2, 0
	s_mov_b32 s6, 0x43600000
	s_waitcnt lgkmcnt(0)
	v_div_scale_f32 v1, null, s0, s0, 1.0
	v_div_scale_f32 v4, vcc_lo, 1.0, s0, 1.0
	s_delay_alu instid0(VALU_DEP_2) | instskip(SKIP_2) | instid1(VALU_DEP_1)
	v_rcp_f32_e32 v2, v1
	s_waitcnt_depctr 0xfff
	v_fma_f32 v3, -v1, v2, 1.0
	v_dual_fmac_f32 v2, v3, v2 :: v_dual_mov_b32 v3, 0
	s_delay_alu instid0(VALU_DEP_1) | instskip(NEXT) | instid1(VALU_DEP_1)
	v_mul_f32_e32 v5, v4, v2
	v_fma_f32 v7, -v1, v5, v4
	s_delay_alu instid0(VALU_DEP_1) | instskip(SKIP_2) | instid1(VALU_DEP_1)
	v_fmac_f32_e32 v5, v7, v2
	ds_load_b32 v7, v3 offset:128
	v_fma_f32 v1, -v1, v5, v4
	v_div_fmas_f32 v1, v1, v2, v5
	s_delay_alu instid0(VALU_DEP_1)
	v_div_fixup_f32 v8, v1, s0, 1.0
	s_branch .LBB11_18
.LBB11_14:                              ;   in Loop: Header=BB11_18 Depth=1
	s_or_b32 exec_lo, exec_lo, s0
	s_delay_alu instid0(VALU_DEP_2) | instskip(NEXT) | instid1(VALU_DEP_2)
	v_lshrrev_b64 v[4:5], 20, v[4:5]
	v_cmp_gt_i32_e32 vcc_lo, 16, v9
	v_and_b32_e32 v1, 0x80, v1
	v_min_i32_e32 v10, 15, v9
	v_cmp_eq_u32_e64 s0, 0, v9
	v_dual_cndmask_b32 v4, 7, v4 :: v_dual_cndmask_b32 v5, 0, v5
	s_delay_alu instid0(VALU_DEP_3) | instskip(NEXT) | instid1(VALU_DEP_2)
	v_lshl_or_b32 v1, v10, 3, v1
	v_cmp_eq_u64_e32 vcc_lo, 0, v[4:5]
	s_delay_alu instid0(VALU_DEP_2)
	v_and_or_b32 v1, v4, 7, v1
	s_and_b32 s0, s0, vcc_lo
	s_delay_alu instid0(VALU_DEP_1) | instid1(SALU_CYCLE_1)
	v_cndmask_b32_e64 v4, v1, 0, s0
.LBB11_15:                              ;   in Loop: Header=BB11_18 Depth=1
	s_or_b32 exec_lo, exec_lo, s13
.LBB11_16:                              ;   in Loop: Header=BB11_18 Depth=1
	s_and_not1_saveexec_b32 s0, s12
	s_delay_alu instid0(SALU_CYCLE_1)
	s_or_b32 exec_lo, exec_lo, s0
.LBB11_17:                              ;   in Loop: Header=BB11_18 Depth=1
	s_and_not1_saveexec_b32 s0, s7
	s_delay_alu instid0(SALU_CYCLE_1) | instskip(SKIP_2) | instid1(VALU_DEP_1)
	s_or_b32 exec_lo, exec_lo, s0
	v_add_nc_u32_e32 v0, v0, v6
	v_add_co_u32 v1, s0, s10, v2
	v_add_co_ci_u32_e64 v2, null, s11, 0, s0
	s_delay_alu instid0(VALU_DEP_3) | instskip(SKIP_2) | instid1(SALU_CYCLE_1)
	v_cmp_le_i32_e32 vcc_lo, s3, v0
	global_store_b8 v[1:2], v4, off
	s_or_b32 s2, vcc_lo, s2
	s_and_not1_b32 exec_lo, exec_lo, s2
	s_cbranch_execz .LBB11_25
.LBB11_18:                              ; =>This Inner Loop Header: Depth=1
	v_add_nc_u32_e32 v2, s14, v0
	v_ashrrev_i32_e32 v1, 31, v0
	s_mov_b32 s0, exec_lo
	v_mov_b32_e32 v10, v3
	s_delay_alu instid0(VALU_DEP_3) | instskip(NEXT) | instid1(VALU_DEP_1)
	v_lshlrev_b64 v[4:5], 1, v[2:3]
	v_add_co_u32 v4, vcc_lo, s8, v4
	s_delay_alu instid0(VALU_DEP_2) | instskip(SKIP_2) | instid1(VALU_DEP_1)
	v_add_co_ci_u32_e32 v5, vcc_lo, s9, v5, vcc_lo
	global_load_u16 v9, v[4:5], off
	v_lshlrev_b64 v[4:5], 1, v[0:1]
	v_add_co_u32 v4, vcc_lo, s4, v4
	s_delay_alu instid0(VALU_DEP_2) | instskip(SKIP_4) | instid1(VALU_DEP_1)
	v_add_co_ci_u32_e32 v5, vcc_lo, s5, v5, vcc_lo
	global_load_u16 v1, v[4:5], off
	s_waitcnt vmcnt(1)
	v_lshlrev_b32_e32 v4, 16, v9
	s_waitcnt lgkmcnt(0)
	v_mul_f32_e32 v4, v7, v4
	s_delay_alu instid0(VALU_DEP_1) | instskip(SKIP_2) | instid1(VALU_DEP_2)
	v_bfe_u32 v5, v4, 16, 1
	s_waitcnt vmcnt(0)
	v_lshlrev_b32_e32 v1, 16, v1
	v_add3_u32 v5, v4, v5, 0x7fff
	s_delay_alu instid0(VALU_DEP_1) | instskip(SKIP_1) | instid1(VALU_DEP_2)
	v_and_b32_e32 v5, 0xffff0000, v5
	v_cmp_o_f32_e32 vcc_lo, v4, v4
	v_cndmask_b32_e32 v4, 0x7fc00000, v5, vcc_lo
	s_delay_alu instid0(VALU_DEP_1) | instskip(NEXT) | instid1(VALU_DEP_1)
	v_mul_f32_e32 v1, v4, v1
	v_bfe_u32 v4, v1, 16, 1
	v_cmp_o_f32_e32 vcc_lo, v1, v1
	s_delay_alu instid0(VALU_DEP_2) | instskip(NEXT) | instid1(VALU_DEP_1)
	v_add3_u32 v4, v1, v4, 0x7fff
	v_and_b32_e32 v4, 0xffff0000, v4
	s_delay_alu instid0(VALU_DEP_1) | instskip(NEXT) | instid1(VALU_DEP_1)
	v_cndmask_b32_e32 v1, 0x7fc00000, v4, vcc_lo
	v_mul_f32_e32 v1, v8, v1
	s_delay_alu instid0(VALU_DEP_1) | instskip(NEXT) | instid1(VALU_DEP_1)
	v_minmax_f32 v5, v1, s6, 0xc3600000
	v_lshrrev_b32_e32 v1, 24, v5
	v_and_b32_e32 v9, 0x7f800000, v5
	s_delay_alu instid0(VALU_DEP_2) | instskip(NEXT) | instid1(VALU_DEP_2)
	v_or_b32_e32 v4, 0x7f, v1
	v_cmpx_ne_u64_e32 0x7f800000, v[9:10]
	s_xor_b32 s7, exec_lo, s0
	s_cbranch_execz .LBB11_17
; %bb.19:                               ;   in Loop: Header=BB11_18 Depth=1
	v_dual_mov_b32 v10, v3 :: v_dual_and_b32 v9, 0x7fffffff, v5
	s_mov_b32 s0, exec_lo
	s_delay_alu instid0(VALU_DEP_1)
	v_cmpx_gt_u64_e32 0x43700001, v[9:10]
	s_xor_b32 s12, exec_lo, s0
	s_cbranch_execz .LBB11_16
; %bb.20:                               ;   in Loop: Header=BB11_18 Depth=1
	v_mov_b32_e32 v4, 0
	s_mov_b32 s13, exec_lo
	v_cmpx_ne_u32_e32 0, v5
	s_cbranch_execz .LBB11_15
; %bb.21:                               ;   in Loop: Header=BB11_18 Depth=1
	v_bfe_u32 v11, v5, 23, 8
	v_and_b32_e32 v9, 0x7fffff, v5
	v_mov_b32_e32 v5, v3
	s_delay_alu instid0(VALU_DEP_3) | instskip(SKIP_2) | instid1(VALU_DEP_3)
	v_sub_nc_u32_e64 v4, 0x78, v11 clamp
	v_cmp_eq_u32_e32 vcc_lo, 0, v11
	v_add_nc_u32_e32 v11, 0xffffff89, v11
	v_cndmask_b32_e64 v16, v4, 0x77, vcc_lo
	v_or_b32_e32 v4, 0x800000, v9
	s_delay_alu instid0(VALU_DEP_2) | instskip(NEXT) | instid1(VALU_DEP_2)
	v_add_nc_u32_e32 v10, 20, v16
	v_cndmask_b32_e32 v4, v4, v9, vcc_lo
	v_add_nc_u32_e32 v14, 19, v16
	s_delay_alu instid0(VALU_DEP_3) | instskip(NEXT) | instid1(VALU_DEP_3)
	v_lshlrev_b64 v[9:10], v10, -1
	v_lshrrev_b64 v[12:13], v16, v[4:5]
	s_delay_alu instid0(VALU_DEP_3) | instskip(SKIP_1) | instid1(VALU_DEP_4)
	v_lshlrev_b64 v[14:15], v14, 1
	v_mov_b32_e32 v10, v3
	v_not_b32_e32 v17, v9
	s_delay_alu instid0(VALU_DEP_4) | instskip(NEXT) | instid1(VALU_DEP_2)
	v_and_b32_e32 v9, 0x100000, v12
	v_and_b32_e32 v4, v4, v17
	s_delay_alu instid0(VALU_DEP_2) | instskip(NEXT) | instid1(VALU_DEP_2)
	v_cmp_eq_u64_e64 s0, 0, v[9:10]
	v_cmp_eq_u64_e64 s1, v[4:5], v[14:15]
	v_cndmask_b32_e64 v4, v11, 0xffffff8a, vcc_lo
	v_lshrrev_b32_e32 v5, 23, v12
	s_delay_alu instid0(VALU_DEP_3) | instskip(NEXT) | instid1(VALU_DEP_1)
	s_and_b32 vcc_lo, s0, s1
	v_add3_u32 v10, v4, v16, v5
	v_subrev_co_ci_u32_e32 v9, vcc_lo, 0, v12, vcc_lo
	s_mov_b32 s0, exec_lo
	s_delay_alu instid0(VALU_DEP_2) | instskip(NEXT) | instid1(VALU_DEP_2)
	v_add_nc_u32_e32 v11, -1, v10
	v_and_b32_e32 v4, 0xfffff, v9
                                        ; implicit-def: $vgpr9
	s_delay_alu instid0(VALU_DEP_1) | instskip(SKIP_1) | instid1(VALU_DEP_4)
	v_add_co_u32 v4, vcc_lo, v4, v12
	v_add_co_ci_u32_e32 v5, vcc_lo, 0, v13, vcc_lo
	v_cmpx_ne_u32_e32 0, v11
	s_xor_b32 s0, exec_lo, s0
; %bb.22:                               ;   in Loop: Header=BB11_18 Depth=1
	s_delay_alu instid0(VALU_DEP_3) | instskip(SKIP_1) | instid1(VALU_DEP_2)
	v_dual_mov_b32 v13, v3 :: v_dual_and_b32 v12, 0x1000000, v4
	v_bfe_u32 v9, v4, 24, 1
	v_cmp_eq_u64_e32 vcc_lo, 0, v[12:13]
	s_delay_alu instid0(VALU_DEP_2)
	v_lshrrev_b64 v[4:5], v9, v[4:5]
	v_cndmask_b32_e32 v9, v10, v11, vcc_lo
; %bb.23:                               ;   in Loop: Header=BB11_18 Depth=1
	s_and_not1_saveexec_b32 s0, s0
	s_cbranch_execz .LBB11_14
; %bb.24:                               ;   in Loop: Header=BB11_18 Depth=1
	s_delay_alu instid0(VALU_DEP_2)
	v_bfe_u32 v9, v4, 23, 1
	s_branch .LBB11_14
.LBB11_25:
	s_nop 0
	s_sendmsg sendmsg(MSG_DEALLOC_VGPRS)
	s_endpgm
	.section	.rodata,"a",@progbits
	.p2align	6, 0x0
	.amdhsa_kernel _ZN4vllm42fused_add_rms_norm_static_fp8_quant_kernelIN3c108BFloat16ELi8ENS1_15Float8_e4m3fnuzEEENSt9enable_ifIXooeqT0_Li0Entsr12_typeConvertIT_EE6existsEvE4typeEPT1_PS5_iSA_PKS5_PKffii
		.amdhsa_group_segment_fixed_size 132
		.amdhsa_private_segment_fixed_size 0
		.amdhsa_kernarg_size 320
		.amdhsa_user_sgpr_count 15
		.amdhsa_user_sgpr_dispatch_ptr 0
		.amdhsa_user_sgpr_queue_ptr 0
		.amdhsa_user_sgpr_kernarg_segment_ptr 1
		.amdhsa_user_sgpr_dispatch_id 0
		.amdhsa_user_sgpr_private_segment_size 0
		.amdhsa_wavefront_size32 1
		.amdhsa_uses_dynamic_stack 0
		.amdhsa_enable_private_segment 0
		.amdhsa_system_sgpr_workgroup_id_x 1
		.amdhsa_system_sgpr_workgroup_id_y 0
		.amdhsa_system_sgpr_workgroup_id_z 0
		.amdhsa_system_sgpr_workgroup_info 0
		.amdhsa_system_vgpr_workitem_id 0
		.amdhsa_next_free_vgpr 18
		.amdhsa_next_free_sgpr 19
		.amdhsa_reserve_vcc 1
		.amdhsa_float_round_mode_32 0
		.amdhsa_float_round_mode_16_64 0
		.amdhsa_float_denorm_mode_32 3
		.amdhsa_float_denorm_mode_16_64 3
		.amdhsa_dx10_clamp 1
		.amdhsa_ieee_mode 1
		.amdhsa_fp16_overflow 0
		.amdhsa_workgroup_processor_mode 1
		.amdhsa_memory_ordered 1
		.amdhsa_forward_progress 0
		.amdhsa_shared_vgpr_count 0
		.amdhsa_exception_fp_ieee_invalid_op 0
		.amdhsa_exception_fp_denorm_src 0
		.amdhsa_exception_fp_ieee_div_zero 0
		.amdhsa_exception_fp_ieee_overflow 0
		.amdhsa_exception_fp_ieee_underflow 0
		.amdhsa_exception_fp_ieee_inexact 0
		.amdhsa_exception_int_div_zero 0
	.end_amdhsa_kernel
	.section	.text._ZN4vllm42fused_add_rms_norm_static_fp8_quant_kernelIN3c108BFloat16ELi8ENS1_15Float8_e4m3fnuzEEENSt9enable_ifIXooeqT0_Li0Entsr12_typeConvertIT_EE6existsEvE4typeEPT1_PS5_iSA_PKS5_PKffii,"axG",@progbits,_ZN4vllm42fused_add_rms_norm_static_fp8_quant_kernelIN3c108BFloat16ELi8ENS1_15Float8_e4m3fnuzEEENSt9enable_ifIXooeqT0_Li0Entsr12_typeConvertIT_EE6existsEvE4typeEPT1_PS5_iSA_PKS5_PKffii,comdat
.Lfunc_end11:
	.size	_ZN4vllm42fused_add_rms_norm_static_fp8_quant_kernelIN3c108BFloat16ELi8ENS1_15Float8_e4m3fnuzEEENSt9enable_ifIXooeqT0_Li0Entsr12_typeConvertIT_EE6existsEvE4typeEPT1_PS5_iSA_PKS5_PKffii, .Lfunc_end11-_ZN4vllm42fused_add_rms_norm_static_fp8_quant_kernelIN3c108BFloat16ELi8ENS1_15Float8_e4m3fnuzEEENSt9enable_ifIXooeqT0_Li0Entsr12_typeConvertIT_EE6existsEvE4typeEPT1_PS5_iSA_PKS5_PKffii
                                        ; -- End function
	.section	.AMDGPU.csdata,"",@progbits
; Kernel info:
; codeLenInByte = 2088
; NumSgprs: 21
; NumVgprs: 18
; ScratchSize: 0
; MemoryBound: 0
; FloatMode: 240
; IeeeMode: 1
; LDSByteSize: 132 bytes/workgroup (compile time only)
; SGPRBlocks: 2
; VGPRBlocks: 2
; NumSGPRsForWavesPerEU: 21
; NumVGPRsForWavesPerEU: 18
; Occupancy: 16
; WaveLimiterHint : 0
; COMPUTE_PGM_RSRC2:SCRATCH_EN: 0
; COMPUTE_PGM_RSRC2:USER_SGPR: 15
; COMPUTE_PGM_RSRC2:TRAP_HANDLER: 0
; COMPUTE_PGM_RSRC2:TGID_X_EN: 1
; COMPUTE_PGM_RSRC2:TGID_Y_EN: 0
; COMPUTE_PGM_RSRC2:TGID_Z_EN: 0
; COMPUTE_PGM_RSRC2:TIDIG_COMP_CNT: 0
	.section	.text._ZN4vllm42fused_add_rms_norm_static_fp8_quant_kernelIfLi0EN3c1013Float8_e4m3fnEEENSt9enable_ifIXooeqT0_Li0Entsr12_typeConvertIT_EE6existsEvE4typeEPT1_PS4_iS9_PKS4_PKffii,"axG",@progbits,_ZN4vllm42fused_add_rms_norm_static_fp8_quant_kernelIfLi0EN3c1013Float8_e4m3fnEEENSt9enable_ifIXooeqT0_Li0Entsr12_typeConvertIT_EE6existsEvE4typeEPT1_PS4_iS9_PKS4_PKffii,comdat
	.protected	_ZN4vllm42fused_add_rms_norm_static_fp8_quant_kernelIfLi0EN3c1013Float8_e4m3fnEEENSt9enable_ifIXooeqT0_Li0Entsr12_typeConvertIT_EE6existsEvE4typeEPT1_PS4_iS9_PKS4_PKffii ; -- Begin function _ZN4vllm42fused_add_rms_norm_static_fp8_quant_kernelIfLi0EN3c1013Float8_e4m3fnEEENSt9enable_ifIXooeqT0_Li0Entsr12_typeConvertIT_EE6existsEvE4typeEPT1_PS4_iS9_PKS4_PKffii
	.globl	_ZN4vllm42fused_add_rms_norm_static_fp8_quant_kernelIfLi0EN3c1013Float8_e4m3fnEEENSt9enable_ifIXooeqT0_Li0Entsr12_typeConvertIT_EE6existsEvE4typeEPT1_PS4_iS9_PKS4_PKffii
	.p2align	8
	.type	_ZN4vllm42fused_add_rms_norm_static_fp8_quant_kernelIfLi0EN3c1013Float8_e4m3fnEEENSt9enable_ifIXooeqT0_Li0Entsr12_typeConvertIT_EE6existsEvE4typeEPT1_PS4_iS9_PKS4_PKffii,@function
_ZN4vllm42fused_add_rms_norm_static_fp8_quant_kernelIfLi0EN3c1013Float8_e4m3fnEEENSt9enable_ifIXooeqT0_Li0Entsr12_typeConvertIT_EE6existsEvE4typeEPT1_PS4_iS9_PKS4_PKffii: ; @_ZN4vllm42fused_add_rms_norm_static_fp8_quant_kernelIfLi0EN3c1013Float8_e4m3fnEEENSt9enable_ifIXooeqT0_Li0Entsr12_typeConvertIT_EE6existsEvE4typeEPT1_PS4_iS9_PKS4_PKffii
; %bb.0:
	s_clause 0x1
	s_load_b32 s3, s[0:1], 0x38
	s_load_b64 s[8:9], s[0:1], 0x18
	s_mov_b32 s4, exec_lo
                                        ; implicit-def: $sgpr13
                                        ; implicit-def: $sgpr12
	s_waitcnt lgkmcnt(0)
	v_cmp_gt_i32_e64 s2, s3, v0
	v_cmpx_le_i32_e64 s3, v0
	s_xor_b32 s4, exec_lo, s4
	s_cbranch_execz .LBB12_2
; %bb.1:
	s_load_b32 s5, s[0:1], 0x4c
	s_mov_b32 s13, 0
	s_waitcnt lgkmcnt(0)
	s_and_b32 s12, s5, 0xffff
.LBB12_2:
	s_or_saveexec_b32 s16, s4
	s_clause 0x1
	s_load_b64 s[10:11], s[0:1], 0x0
	s_load_b128 s[4:7], s[0:1], 0x20
	v_dual_mov_b32 v3, s13 :: v_dual_mov_b32 v6, s12
	s_mul_i32 s14, s15, s3
	s_xor_b32 exec_lo, exec_lo, s16
	s_cbranch_execz .LBB12_6
; %bb.3:
	s_clause 0x2
	s_load_b32 s17, s[0:1], 0x10
	s_load_b32 s18, s[0:1], 0x4c
	s_load_b64 s[12:13], s[0:1], 0x8
	v_dual_mov_b32 v2, 0 :: v_dual_mov_b32 v3, 0
	v_mov_b32_e32 v4, v0
	s_waitcnt lgkmcnt(0)
	s_mul_i32 s17, s15, s17
	s_and_b32 s15, s18, 0xffff
	s_mov_b32 s18, 0
	.p2align	6
.LBB12_4:                               ; =>This Inner Loop Header: Depth=1
	v_add_nc_u32_e32 v1, s17, v4
	s_delay_alu instid0(VALU_DEP_1) | instskip(SKIP_1) | instid1(VALU_DEP_1)
	v_lshlrev_b64 v[5:6], 2, v[1:2]
	v_add_nc_u32_e32 v1, s14, v4
	v_lshlrev_b64 v[7:8], 2, v[1:2]
	s_delay_alu instid0(VALU_DEP_3) | instskip(NEXT) | instid1(VALU_DEP_4)
	v_add_co_u32 v5, vcc_lo, s12, v5
	v_add_co_ci_u32_e32 v6, vcc_lo, s13, v6, vcc_lo
	s_delay_alu instid0(VALU_DEP_3) | instskip(NEXT) | instid1(VALU_DEP_4)
	v_add_co_u32 v7, vcc_lo, s8, v7
	v_add_co_ci_u32_e32 v8, vcc_lo, s9, v8, vcc_lo
	global_load_b32 v1, v[5:6], off
	global_load_b32 v5, v[7:8], off
	s_waitcnt vmcnt(0)
	v_dual_add_f32 v1, v1, v5 :: v_dual_add_nc_u32 v4, s15, v4
	s_delay_alu instid0(VALU_DEP_1) | instskip(NEXT) | instid1(VALU_DEP_2)
	v_cmp_le_i32_e32 vcc_lo, s3, v4
	v_fmac_f32_e32 v3, v1, v1
	s_or_b32 s18, vcc_lo, s18
	global_store_b32 v[7:8], v1, off
	s_and_not1_b32 exec_lo, exec_lo, s18
	s_cbranch_execnz .LBB12_4
; %bb.5:
	s_or_b32 exec_lo, exec_lo, s18
	v_mov_b32_e32 v6, s15
.LBB12_6:
	s_or_b32 exec_lo, exec_lo, s16
	v_mbcnt_lo_u32_b32 v1, -1, 0
	v_and_b32_e32 v4, 0x3e0, v0
	s_mov_b32 s12, exec_lo
	s_delay_alu instid0(VALU_DEP_2) | instskip(NEXT) | instid1(VALU_DEP_2)
	v_cmp_ne_u32_e32 vcc_lo, 31, v1
	v_sub_nc_u32_e64 v13, v6, v4 clamp
	v_add_nc_u32_e32 v4, 1, v1
	v_add_co_ci_u32_e32 v2, vcc_lo, 0, v1, vcc_lo
	v_cmp_gt_u32_e32 vcc_lo, 30, v1
	s_delay_alu instid0(VALU_DEP_2)
	v_lshlrev_b32_e32 v2, 2, v2
	v_cndmask_b32_e64 v7, 0, 1, vcc_lo
	v_cmp_lt_u32_e32 vcc_lo, v4, v13
	ds_bpermute_b32 v5, v2, v3
	s_waitcnt lgkmcnt(0)
	v_dual_add_f32 v8, v3, v5 :: v_dual_lshlrev_b32 v7, 1, v7
	s_delay_alu instid0(VALU_DEP_1) | instskip(NEXT) | instid1(VALU_DEP_2)
	v_add_lshl_u32 v5, v7, v1, 2
	v_cndmask_b32_e32 v8, v3, v8, vcc_lo
	v_cmp_gt_u32_e32 vcc_lo, 28, v1
	v_cndmask_b32_e64 v3, 0, 1, vcc_lo
	s_delay_alu instid0(VALU_DEP_1) | instskip(SKIP_3) | instid1(VALU_DEP_1)
	v_lshlrev_b32_e32 v9, 2, v3
	ds_bpermute_b32 v7, v5, v8
	s_waitcnt lgkmcnt(0)
	v_dual_add_f32 v10, v8, v7 :: v_dual_add_nc_u32 v3, 2, v1
	v_cmp_lt_u32_e32 vcc_lo, v3, v13
	v_add_lshl_u32 v7, v9, v1, 2
	s_delay_alu instid0(VALU_DEP_3) | instskip(SKIP_2) | instid1(VALU_DEP_1)
	v_cndmask_b32_e32 v10, v8, v10, vcc_lo
	v_cmp_gt_u32_e32 vcc_lo, 24, v1
	v_cndmask_b32_e64 v8, 0, 1, vcc_lo
	v_lshlrev_b32_e32 v11, 3, v8
	ds_bpermute_b32 v9, v7, v10
	v_add_nc_u32_e32 v8, 4, v1
	s_delay_alu instid0(VALU_DEP_1) | instskip(SKIP_3) | instid1(VALU_DEP_2)
	v_cmp_lt_u32_e32 vcc_lo, v8, v13
	s_waitcnt lgkmcnt(0)
	v_add_f32_e32 v12, v10, v9
	v_add_lshl_u32 v9, v11, v1, 2
	v_cndmask_b32_e32 v12, v10, v12, vcc_lo
	v_cmp_gt_u32_e32 vcc_lo, 16, v1
	ds_bpermute_b32 v11, v9, v12
	v_cndmask_b32_e64 v10, 0, 1, vcc_lo
	s_delay_alu instid0(VALU_DEP_1) | instskip(SKIP_1) | instid1(VALU_DEP_1)
	v_lshlrev_b32_e32 v14, 4, v10
	v_add_nc_u32_e32 v10, 8, v1
	v_cmp_lt_u32_e32 vcc_lo, v10, v13
	s_waitcnt lgkmcnt(0)
	v_add_f32_e32 v15, v12, v11
	v_add_lshl_u32 v11, v14, v1, 2
	s_delay_alu instid0(VALU_DEP_2)
	v_cndmask_b32_e32 v14, v12, v15, vcc_lo
	v_add_nc_u32_e32 v12, 16, v1
	ds_bpermute_b32 v15, v11, v14
	v_cmp_lt_u32_e32 vcc_lo, v12, v13
	s_waitcnt lgkmcnt(0)
	v_add_f32_e32 v15, v14, v15
	s_delay_alu instid0(VALU_DEP_1)
	v_cndmask_b32_e32 v13, v14, v15, vcc_lo
	v_cmpx_eq_u32_e32 0, v1
	s_cbranch_execz .LBB12_8
; %bb.7:
	v_lshrrev_b32_e32 v14, 3, v0
	s_delay_alu instid0(VALU_DEP_1)
	v_and_b32_e32 v14, 0x7c, v14
	ds_store_b32 v14, v13
.LBB12_8:
	s_or_b32 exec_lo, exec_lo, s12
	s_delay_alu instid0(SALU_CYCLE_1)
	s_mov_b32 s12, exec_lo
	s_waitcnt lgkmcnt(0)
	s_waitcnt_vscnt null, 0x0
	s_barrier
	buffer_gl0_inv
	v_cmpx_gt_u32_e32 32, v0
	s_cbranch_execz .LBB12_10
; %bb.9:
	v_lshlrev_b32_e32 v1, 2, v1
	v_add_nc_u32_e32 v13, 31, v6
	ds_load_b32 v1, v1
	v_lshrrev_b32_e32 v13, 5, v13
	s_delay_alu instid0(VALU_DEP_1) | instskip(SKIP_4) | instid1(VALU_DEP_1)
	v_cmp_lt_u32_e32 vcc_lo, v4, v13
	s_waitcnt lgkmcnt(0)
	ds_bpermute_b32 v2, v2, v1
	s_waitcnt lgkmcnt(0)
	v_add_f32_e32 v2, v1, v2
	v_cndmask_b32_e32 v1, v1, v2, vcc_lo
	v_cmp_lt_u32_e32 vcc_lo, v3, v13
	ds_bpermute_b32 v2, v5, v1
	s_waitcnt lgkmcnt(0)
	v_add_f32_e32 v2, v1, v2
	s_delay_alu instid0(VALU_DEP_1) | instskip(SKIP_4) | instid1(VALU_DEP_1)
	v_cndmask_b32_e32 v1, v1, v2, vcc_lo
	v_cmp_lt_u32_e32 vcc_lo, v8, v13
	ds_bpermute_b32 v2, v7, v1
	s_waitcnt lgkmcnt(0)
	v_add_f32_e32 v2, v1, v2
	v_cndmask_b32_e32 v1, v1, v2, vcc_lo
	v_cmp_lt_u32_e32 vcc_lo, v10, v13
	ds_bpermute_b32 v2, v9, v1
	s_waitcnt lgkmcnt(0)
	v_add_f32_e32 v2, v1, v2
	s_delay_alu instid0(VALU_DEP_1) | instskip(SKIP_4) | instid1(VALU_DEP_1)
	v_cndmask_b32_e32 v1, v1, v2, vcc_lo
	v_cmp_lt_u32_e32 vcc_lo, v12, v13
	ds_bpermute_b32 v2, v11, v1
	s_waitcnt lgkmcnt(0)
	v_add_f32_e32 v2, v1, v2
	v_cndmask_b32_e32 v13, v1, v2, vcc_lo
.LBB12_10:
	s_or_b32 exec_lo, exec_lo, s12
	s_delay_alu instid0(SALU_CYCLE_1)
	s_mov_b32 s12, exec_lo
	v_cmpx_eq_u32_e32 0, v0
	s_cbranch_execz .LBB12_12
; %bb.11:
	v_cvt_f32_i32_e32 v1, s3
	s_load_b32 s0, s[0:1], 0x30
	s_delay_alu instid0(VALU_DEP_1) | instskip(SKIP_1) | instid1(VALU_DEP_2)
	v_div_scale_f32 v2, null, v1, v1, v13
	v_div_scale_f32 v5, vcc_lo, v13, v1, v13
	v_rcp_f32_e32 v3, v2
	s_waitcnt_depctr 0xfff
	v_fma_f32 v4, -v2, v3, 1.0
	s_delay_alu instid0(VALU_DEP_1) | instskip(NEXT) | instid1(VALU_DEP_1)
	v_fmac_f32_e32 v3, v4, v3
	v_mul_f32_e32 v4, v5, v3
	s_delay_alu instid0(VALU_DEP_1) | instskip(NEXT) | instid1(VALU_DEP_1)
	v_fma_f32 v7, -v2, v4, v5
	v_fmac_f32_e32 v4, v7, v3
	s_delay_alu instid0(VALU_DEP_1) | instskip(NEXT) | instid1(VALU_DEP_1)
	v_fma_f32 v2, -v2, v4, v5
	v_div_fmas_f32 v2, v2, v3, v4
	s_delay_alu instid0(VALU_DEP_1) | instskip(SKIP_1) | instid1(VALU_DEP_1)
	v_div_fixup_f32 v1, v2, v1, v13
	s_waitcnt lgkmcnt(0)
	v_add_f32_e32 v1, s0, v1
	s_delay_alu instid0(VALU_DEP_1) | instskip(SKIP_1) | instid1(VALU_DEP_2)
	v_mul_f32_e32 v2, 0x4b800000, v1
	v_cmp_gt_f32_e32 vcc_lo, 0x800000, v1
	v_cndmask_b32_e32 v1, v1, v2, vcc_lo
	s_delay_alu instid0(VALU_DEP_1) | instskip(SKIP_2) | instid1(VALU_DEP_1)
	v_rsq_f32_e32 v1, v1
	s_waitcnt_depctr 0xfff
	v_mul_f32_e32 v2, 0x45800000, v1
	v_dual_cndmask_b32 v1, v1, v2 :: v_dual_mov_b32 v2, 0
	ds_store_b32 v2, v1 offset:128
.LBB12_12:
	s_or_b32 exec_lo, exec_lo, s12
	s_waitcnt lgkmcnt(0)
	s_barrier
	buffer_gl0_inv
	s_and_saveexec_b32 s0, s2
	s_cbranch_execz .LBB12_31
; %bb.13:
	s_load_b32 s0, s[6:7], 0x0
	s_mov_b32 s2, 0
	s_mov_b32 s6, 0x43e00000
	s_waitcnt lgkmcnt(0)
	v_div_scale_f32 v1, null, s0, s0, 1.0
	v_div_scale_f32 v4, vcc_lo, 1.0, s0, 1.0
	s_delay_alu instid0(VALU_DEP_2) | instskip(SKIP_2) | instid1(VALU_DEP_1)
	v_rcp_f32_e32 v2, v1
	s_waitcnt_depctr 0xfff
	v_fma_f32 v3, -v1, v2, 1.0
	v_dual_fmac_f32 v2, v3, v2 :: v_dual_mov_b32 v3, 0
	s_delay_alu instid0(VALU_DEP_1) | instskip(NEXT) | instid1(VALU_DEP_1)
	v_mul_f32_e32 v5, v4, v2
	v_fma_f32 v7, -v1, v5, v4
	s_delay_alu instid0(VALU_DEP_1) | instskip(SKIP_2) | instid1(VALU_DEP_1)
	v_fmac_f32_e32 v5, v7, v2
	ds_load_b32 v7, v3 offset:128
	v_fma_f32 v1, -v1, v5, v4
	v_div_fmas_f32 v1, v1, v2, v5
	s_delay_alu instid0(VALU_DEP_1)
	v_div_fixup_f32 v8, v1, s0, 1.0
	s_branch .LBB12_15
.LBB12_14:                              ;   in Loop: Header=BB12_15 Depth=1
	s_or_b32 exec_lo, exec_lo, s0
	v_add_nc_u32_e32 v0, v0, v6
	v_add_co_u32 v1, s0, s10, v2
	s_delay_alu instid0(VALU_DEP_1) | instskip(NEXT) | instid1(VALU_DEP_3)
	v_add_co_ci_u32_e64 v2, null, s11, 0, s0
	v_cmp_le_i32_e32 vcc_lo, s3, v0
	global_store_b8 v[1:2], v9, off
	s_or_b32 s2, vcc_lo, s2
	s_delay_alu instid0(SALU_CYCLE_1)
	s_and_not1_b32 exec_lo, exec_lo, s2
	s_cbranch_execz .LBB12_31
.LBB12_15:                              ; =>This Inner Loop Header: Depth=1
	v_add_nc_u32_e32 v2, s14, v0
	v_ashrrev_i32_e32 v1, 31, v0
	v_mov_b32_e32 v13, v3
	s_mov_b32 s0, exec_lo
	s_delay_alu instid0(VALU_DEP_3) | instskip(NEXT) | instid1(VALU_DEP_3)
	v_lshlrev_b64 v[4:5], 2, v[2:3]
	v_lshlrev_b64 v[9:10], 2, v[0:1]
	s_delay_alu instid0(VALU_DEP_2) | instskip(NEXT) | instid1(VALU_DEP_3)
	v_add_co_u32 v4, vcc_lo, s8, v4
	v_add_co_ci_u32_e32 v5, vcc_lo, s9, v5, vcc_lo
	global_load_b32 v1, v[4:5], off
	v_add_co_u32 v4, vcc_lo, s4, v9
	v_add_co_ci_u32_e32 v5, vcc_lo, s5, v10, vcc_lo
	global_load_b32 v4, v[4:5], off
	v_mov_b32_e32 v5, v3
	s_waitcnt vmcnt(1) lgkmcnt(0)
	v_mul_f32_e32 v1, v1, v7
	s_waitcnt vmcnt(0)
	s_delay_alu instid0(VALU_DEP_1) | instskip(NEXT) | instid1(VALU_DEP_1)
	v_mul_f32_e32 v1, v1, v4
	v_mul_f32_e32 v1, v8, v1
	s_delay_alu instid0(VALU_DEP_1) | instskip(NEXT) | instid1(VALU_DEP_1)
	v_minmax_f32 v10, v1, s6, 0xc3e00000
	v_and_b32_e32 v4, 0x7fffff, v10
	v_lshrrev_b32_e32 v11, 24, v10
	v_and_b32_e32 v12, 0x7f800000, v10
	s_delay_alu instid0(VALU_DEP_2) | instskip(NEXT) | instid1(VALU_DEP_1)
	v_and_b32_e32 v1, 0x80, v11
	v_or_b32_e32 v9, 0x7e, v1
	s_delay_alu instid0(VALU_DEP_3)
	v_cmpx_ne_u64_e32 0x7f800000, v[12:13]
	s_xor_b32 s7, exec_lo, s0
	s_cbranch_execz .LBB12_29
; %bb.16:                               ;   in Loop: Header=BB12_15 Depth=1
	v_dual_mov_b32 v12, v3 :: v_dual_and_b32 v11, 0x7fffffff, v10
	s_mov_b32 s0, exec_lo
	s_delay_alu instid0(VALU_DEP_1)
	v_cmpx_gt_u64_e32 0x43e00001, v[11:12]
	s_xor_b32 s12, exec_lo, s0
	s_cbranch_execz .LBB12_28
; %bb.17:                               ;   in Loop: Header=BB12_15 Depth=1
	v_mov_b32_e32 v9, 0
	s_mov_b32 s13, exec_lo
	v_cmpx_ne_u32_e32 0, v10
	s_cbranch_execz .LBB12_27
; %bb.18:                               ;   in Loop: Header=BB12_15 Depth=1
	v_bfe_u32 v11, v10, 23, 8
	s_delay_alu instid0(VALU_DEP_1) | instskip(SKIP_2) | instid1(VALU_DEP_3)
	v_sub_nc_u32_e64 v9, 0x79, v11 clamp
	v_cmp_eq_u32_e32 vcc_lo, 0, v11
	v_add_nc_u32_e32 v11, 0xffffff88, v11
	v_cndmask_b32_e64 v16, v9, 0x78, vcc_lo
	v_or_b32_e32 v9, 0x800000, v4
	s_delay_alu instid0(VALU_DEP_2) | instskip(NEXT) | instid1(VALU_DEP_2)
	v_add_nc_u32_e32 v10, 20, v16
	v_cndmask_b32_e32 v4, v9, v4, vcc_lo
	v_add_nc_u32_e32 v14, 19, v16
	s_delay_alu instid0(VALU_DEP_3) | instskip(NEXT) | instid1(VALU_DEP_3)
	v_lshlrev_b64 v[9:10], v10, -1
	v_lshrrev_b64 v[12:13], v16, v[4:5]
	s_delay_alu instid0(VALU_DEP_3) | instskip(NEXT) | instid1(VALU_DEP_3)
	v_lshlrev_b64 v[14:15], v14, 1
	v_not_b32_e32 v5, v10
	s_delay_alu instid0(VALU_DEP_4) | instskip(NEXT) | instid1(VALU_DEP_4)
	v_not_b32_e32 v17, v9
	v_dual_mov_b32 v10, v3 :: v_dual_and_b32 v9, 0x100000, v12
	s_delay_alu instid0(VALU_DEP_3) | instskip(NEXT) | instid1(VALU_DEP_3)
	v_and_b32_e32 v5, 0, v5
	v_and_b32_e32 v4, v4, v17
	s_delay_alu instid0(VALU_DEP_3) | instskip(NEXT) | instid1(VALU_DEP_2)
	v_cmp_eq_u64_e64 s0, 0, v[9:10]
	v_cmp_eq_u64_e64 s1, v[4:5], v[14:15]
	v_cndmask_b32_e64 v4, v11, 0xffffff89, vcc_lo
	v_lshrrev_b32_e32 v5, 23, v12
	s_delay_alu instid0(VALU_DEP_3) | instskip(NEXT) | instid1(VALU_DEP_1)
	s_and_b32 vcc_lo, s0, s1
	v_add3_u32 v9, v4, v16, v5
	v_subrev_co_ci_u32_e32 v10, vcc_lo, 0, v12, vcc_lo
	s_mov_b32 s0, exec_lo
	s_delay_alu instid0(VALU_DEP_2) | instskip(NEXT) | instid1(VALU_DEP_2)
	v_add_nc_u32_e32 v11, -1, v9
	v_and_b32_e32 v4, 0xfffff, v10
                                        ; implicit-def: $vgpr10
	s_delay_alu instid0(VALU_DEP_1) | instskip(SKIP_1) | instid1(VALU_DEP_4)
	v_add_co_u32 v4, vcc_lo, v4, v12
	v_add_co_ci_u32_e32 v5, vcc_lo, 0, v13, vcc_lo
	v_cmpx_ne_u32_e32 0, v11
	s_xor_b32 s0, exec_lo, s0
; %bb.19:                               ;   in Loop: Header=BB12_15 Depth=1
	s_delay_alu instid0(VALU_DEP_3) | instskip(SKIP_1) | instid1(VALU_DEP_2)
	v_dual_mov_b32 v13, v3 :: v_dual_and_b32 v12, 0x1000000, v4
	v_bfe_u32 v10, v4, 24, 1
	v_cmp_eq_u64_e32 vcc_lo, 0, v[12:13]
	s_delay_alu instid0(VALU_DEP_2)
	v_lshrrev_b64 v[4:5], v10, v[4:5]
	v_cndmask_b32_e32 v10, v9, v11, vcc_lo
; %bb.20:                               ;   in Loop: Header=BB12_15 Depth=1
	s_and_not1_saveexec_b32 s0, s0
; %bb.21:                               ;   in Loop: Header=BB12_15 Depth=1
	s_delay_alu instid0(VALU_DEP_2)
	v_bfe_u32 v10, v4, 23, 1
; %bb.22:                               ;   in Loop: Header=BB12_15 Depth=1
	s_or_b32 exec_lo, exec_lo, s0
	s_delay_alu instid0(VALU_DEP_3) | instskip(NEXT) | instid1(VALU_DEP_2)
	v_lshrrev_b64 v[4:5], 20, v[4:5]
	v_cmp_gt_i32_e32 vcc_lo, 16, v10
	v_cmp_ne_u32_e64 s0, 0, v10
                                        ; implicit-def: $vgpr9
	s_delay_alu instid0(VALU_DEP_3) | instskip(NEXT) | instid1(VALU_DEP_1)
	v_dual_cndmask_b32 v5, 0, v5 :: v_dual_cndmask_b32 v4, 7, v4
	v_cmp_ne_u64_e32 vcc_lo, 0, v[4:5]
	s_delay_alu instid0(VALU_DEP_3) | instskip(NEXT) | instid1(SALU_CYCLE_1)
	s_or_b32 s0, s0, vcc_lo
	s_and_saveexec_b32 s1, s0
	s_delay_alu instid0(SALU_CYCLE_1)
	s_xor_b32 s0, exec_lo, s1
; %bb.23:                               ;   in Loop: Header=BB12_15 Depth=1
	v_min_i32_e32 v5, 15, v10
	s_delay_alu instid0(VALU_DEP_1) | instskip(NEXT) | instid1(VALU_DEP_1)
	v_lshl_or_b32 v1, v5, 3, v1
	v_and_or_b32 v9, v4, 7, v1
                                        ; implicit-def: $vgpr1
; %bb.24:                               ;   in Loop: Header=BB12_15 Depth=1
	s_and_not1_saveexec_b32 s0, s0
; %bb.25:                               ;   in Loop: Header=BB12_15 Depth=1
	v_mov_b32_e32 v9, v1
; %bb.26:                               ;   in Loop: Header=BB12_15 Depth=1
	s_or_b32 exec_lo, exec_lo, s0
.LBB12_27:                              ;   in Loop: Header=BB12_15 Depth=1
	s_delay_alu instid0(SALU_CYCLE_1)
	s_or_b32 exec_lo, exec_lo, s13
.LBB12_28:                              ;   in Loop: Header=BB12_15 Depth=1
	s_and_not1_saveexec_b32 s0, s12
	s_delay_alu instid0(SALU_CYCLE_1)
	s_or_b32 exec_lo, exec_lo, s0
                                        ; implicit-def: $vgpr11
                                        ; implicit-def: $vgpr4_vgpr5
.LBB12_29:                              ;   in Loop: Header=BB12_15 Depth=1
	s_and_not1_saveexec_b32 s0, s7
	s_cbranch_execz .LBB12_14
; %bb.30:                               ;   in Loop: Header=BB12_15 Depth=1
	v_cmp_eq_u64_e32 vcc_lo, 0, v[4:5]
	v_or_b32_e32 v1, 0x7f, v11
	s_delay_alu instid0(VALU_DEP_1)
	v_cndmask_b32_e32 v9, v1, v9, vcc_lo
	s_branch .LBB12_14
.LBB12_31:
	s_nop 0
	s_sendmsg sendmsg(MSG_DEALLOC_VGPRS)
	s_endpgm
	.section	.rodata,"a",@progbits
	.p2align	6, 0x0
	.amdhsa_kernel _ZN4vllm42fused_add_rms_norm_static_fp8_quant_kernelIfLi0EN3c1013Float8_e4m3fnEEENSt9enable_ifIXooeqT0_Li0Entsr12_typeConvertIT_EE6existsEvE4typeEPT1_PS4_iS9_PKS4_PKffii
		.amdhsa_group_segment_fixed_size 132
		.amdhsa_private_segment_fixed_size 0
		.amdhsa_kernarg_size 320
		.amdhsa_user_sgpr_count 15
		.amdhsa_user_sgpr_dispatch_ptr 0
		.amdhsa_user_sgpr_queue_ptr 0
		.amdhsa_user_sgpr_kernarg_segment_ptr 1
		.amdhsa_user_sgpr_dispatch_id 0
		.amdhsa_user_sgpr_private_segment_size 0
		.amdhsa_wavefront_size32 1
		.amdhsa_uses_dynamic_stack 0
		.amdhsa_enable_private_segment 0
		.amdhsa_system_sgpr_workgroup_id_x 1
		.amdhsa_system_sgpr_workgroup_id_y 0
		.amdhsa_system_sgpr_workgroup_id_z 0
		.amdhsa_system_sgpr_workgroup_info 0
		.amdhsa_system_vgpr_workitem_id 0
		.amdhsa_next_free_vgpr 18
		.amdhsa_next_free_sgpr 19
		.amdhsa_reserve_vcc 1
		.amdhsa_float_round_mode_32 0
		.amdhsa_float_round_mode_16_64 0
		.amdhsa_float_denorm_mode_32 3
		.amdhsa_float_denorm_mode_16_64 3
		.amdhsa_dx10_clamp 1
		.amdhsa_ieee_mode 1
		.amdhsa_fp16_overflow 0
		.amdhsa_workgroup_processor_mode 1
		.amdhsa_memory_ordered 1
		.amdhsa_forward_progress 0
		.amdhsa_shared_vgpr_count 0
		.amdhsa_exception_fp_ieee_invalid_op 0
		.amdhsa_exception_fp_denorm_src 0
		.amdhsa_exception_fp_ieee_div_zero 0
		.amdhsa_exception_fp_ieee_overflow 0
		.amdhsa_exception_fp_ieee_underflow 0
		.amdhsa_exception_fp_ieee_inexact 0
		.amdhsa_exception_int_div_zero 0
	.end_amdhsa_kernel
	.section	.text._ZN4vllm42fused_add_rms_norm_static_fp8_quant_kernelIfLi0EN3c1013Float8_e4m3fnEEENSt9enable_ifIXooeqT0_Li0Entsr12_typeConvertIT_EE6existsEvE4typeEPT1_PS4_iS9_PKS4_PKffii,"axG",@progbits,_ZN4vllm42fused_add_rms_norm_static_fp8_quant_kernelIfLi0EN3c1013Float8_e4m3fnEEENSt9enable_ifIXooeqT0_Li0Entsr12_typeConvertIT_EE6existsEvE4typeEPT1_PS4_iS9_PKS4_PKffii,comdat
.Lfunc_end12:
	.size	_ZN4vllm42fused_add_rms_norm_static_fp8_quant_kernelIfLi0EN3c1013Float8_e4m3fnEEENSt9enable_ifIXooeqT0_Li0Entsr12_typeConvertIT_EE6existsEvE4typeEPT1_PS4_iS9_PKS4_PKffii, .Lfunc_end12-_ZN4vllm42fused_add_rms_norm_static_fp8_quant_kernelIfLi0EN3c1013Float8_e4m3fnEEENSt9enable_ifIXooeqT0_Li0Entsr12_typeConvertIT_EE6existsEvE4typeEPT1_PS4_iS9_PKS4_PKffii
                                        ; -- End function
	.section	.AMDGPU.csdata,"",@progbits
; Kernel info:
; codeLenInByte = 1964
; NumSgprs: 21
; NumVgprs: 18
; ScratchSize: 0
; MemoryBound: 0
; FloatMode: 240
; IeeeMode: 1
; LDSByteSize: 132 bytes/workgroup (compile time only)
; SGPRBlocks: 2
; VGPRBlocks: 2
; NumSGPRsForWavesPerEU: 21
; NumVGPRsForWavesPerEU: 18
; Occupancy: 16
; WaveLimiterHint : 0
; COMPUTE_PGM_RSRC2:SCRATCH_EN: 0
; COMPUTE_PGM_RSRC2:USER_SGPR: 15
; COMPUTE_PGM_RSRC2:TRAP_HANDLER: 0
; COMPUTE_PGM_RSRC2:TGID_X_EN: 1
; COMPUTE_PGM_RSRC2:TGID_Y_EN: 0
; COMPUTE_PGM_RSRC2:TGID_Z_EN: 0
; COMPUTE_PGM_RSRC2:TIDIG_COMP_CNT: 0
	.section	.text._ZN4vllm42fused_add_rms_norm_static_fp8_quant_kernelIfLi0EN3c1015Float8_e4m3fnuzEEENSt9enable_ifIXooeqT0_Li0Entsr12_typeConvertIT_EE6existsEvE4typeEPT1_PS4_iS9_PKS4_PKffii,"axG",@progbits,_ZN4vllm42fused_add_rms_norm_static_fp8_quant_kernelIfLi0EN3c1015Float8_e4m3fnuzEEENSt9enable_ifIXooeqT0_Li0Entsr12_typeConvertIT_EE6existsEvE4typeEPT1_PS4_iS9_PKS4_PKffii,comdat
	.protected	_ZN4vllm42fused_add_rms_norm_static_fp8_quant_kernelIfLi0EN3c1015Float8_e4m3fnuzEEENSt9enable_ifIXooeqT0_Li0Entsr12_typeConvertIT_EE6existsEvE4typeEPT1_PS4_iS9_PKS4_PKffii ; -- Begin function _ZN4vllm42fused_add_rms_norm_static_fp8_quant_kernelIfLi0EN3c1015Float8_e4m3fnuzEEENSt9enable_ifIXooeqT0_Li0Entsr12_typeConvertIT_EE6existsEvE4typeEPT1_PS4_iS9_PKS4_PKffii
	.globl	_ZN4vllm42fused_add_rms_norm_static_fp8_quant_kernelIfLi0EN3c1015Float8_e4m3fnuzEEENSt9enable_ifIXooeqT0_Li0Entsr12_typeConvertIT_EE6existsEvE4typeEPT1_PS4_iS9_PKS4_PKffii
	.p2align	8
	.type	_ZN4vllm42fused_add_rms_norm_static_fp8_quant_kernelIfLi0EN3c1015Float8_e4m3fnuzEEENSt9enable_ifIXooeqT0_Li0Entsr12_typeConvertIT_EE6existsEvE4typeEPT1_PS4_iS9_PKS4_PKffii,@function
_ZN4vllm42fused_add_rms_norm_static_fp8_quant_kernelIfLi0EN3c1015Float8_e4m3fnuzEEENSt9enable_ifIXooeqT0_Li0Entsr12_typeConvertIT_EE6existsEvE4typeEPT1_PS4_iS9_PKS4_PKffii: ; @_ZN4vllm42fused_add_rms_norm_static_fp8_quant_kernelIfLi0EN3c1015Float8_e4m3fnuzEEENSt9enable_ifIXooeqT0_Li0Entsr12_typeConvertIT_EE6existsEvE4typeEPT1_PS4_iS9_PKS4_PKffii
; %bb.0:
	s_clause 0x1
	s_load_b32 s3, s[0:1], 0x38
	s_load_b64 s[8:9], s[0:1], 0x18
	s_mov_b32 s4, exec_lo
                                        ; implicit-def: $sgpr13
                                        ; implicit-def: $sgpr12
	s_waitcnt lgkmcnt(0)
	v_cmp_gt_i32_e64 s2, s3, v0
	v_cmpx_le_i32_e64 s3, v0
	s_xor_b32 s4, exec_lo, s4
	s_cbranch_execz .LBB13_2
; %bb.1:
	s_load_b32 s5, s[0:1], 0x4c
	s_mov_b32 s13, 0
	s_waitcnt lgkmcnt(0)
	s_and_b32 s12, s5, 0xffff
.LBB13_2:
	s_or_saveexec_b32 s16, s4
	s_clause 0x1
	s_load_b64 s[10:11], s[0:1], 0x0
	s_load_b128 s[4:7], s[0:1], 0x20
	v_dual_mov_b32 v3, s13 :: v_dual_mov_b32 v6, s12
	s_mul_i32 s14, s15, s3
	s_xor_b32 exec_lo, exec_lo, s16
	s_cbranch_execz .LBB13_6
; %bb.3:
	s_clause 0x2
	s_load_b32 s17, s[0:1], 0x10
	s_load_b32 s18, s[0:1], 0x4c
	s_load_b64 s[12:13], s[0:1], 0x8
	v_dual_mov_b32 v2, 0 :: v_dual_mov_b32 v3, 0
	v_mov_b32_e32 v4, v0
	s_waitcnt lgkmcnt(0)
	s_mul_i32 s17, s15, s17
	s_and_b32 s15, s18, 0xffff
	s_mov_b32 s18, 0
	.p2align	6
.LBB13_4:                               ; =>This Inner Loop Header: Depth=1
	v_add_nc_u32_e32 v1, s17, v4
	s_delay_alu instid0(VALU_DEP_1) | instskip(SKIP_1) | instid1(VALU_DEP_1)
	v_lshlrev_b64 v[5:6], 2, v[1:2]
	v_add_nc_u32_e32 v1, s14, v4
	v_lshlrev_b64 v[7:8], 2, v[1:2]
	s_delay_alu instid0(VALU_DEP_3) | instskip(NEXT) | instid1(VALU_DEP_4)
	v_add_co_u32 v5, vcc_lo, s12, v5
	v_add_co_ci_u32_e32 v6, vcc_lo, s13, v6, vcc_lo
	s_delay_alu instid0(VALU_DEP_3) | instskip(NEXT) | instid1(VALU_DEP_4)
	v_add_co_u32 v7, vcc_lo, s8, v7
	v_add_co_ci_u32_e32 v8, vcc_lo, s9, v8, vcc_lo
	global_load_b32 v1, v[5:6], off
	global_load_b32 v5, v[7:8], off
	s_waitcnt vmcnt(0)
	v_dual_add_f32 v1, v1, v5 :: v_dual_add_nc_u32 v4, s15, v4
	s_delay_alu instid0(VALU_DEP_1) | instskip(NEXT) | instid1(VALU_DEP_2)
	v_cmp_le_i32_e32 vcc_lo, s3, v4
	v_fmac_f32_e32 v3, v1, v1
	s_or_b32 s18, vcc_lo, s18
	global_store_b32 v[7:8], v1, off
	s_and_not1_b32 exec_lo, exec_lo, s18
	s_cbranch_execnz .LBB13_4
; %bb.5:
	s_or_b32 exec_lo, exec_lo, s18
	v_mov_b32_e32 v6, s15
.LBB13_6:
	s_or_b32 exec_lo, exec_lo, s16
	v_mbcnt_lo_u32_b32 v1, -1, 0
	v_and_b32_e32 v4, 0x3e0, v0
	s_mov_b32 s12, exec_lo
	s_delay_alu instid0(VALU_DEP_2) | instskip(NEXT) | instid1(VALU_DEP_2)
	v_cmp_ne_u32_e32 vcc_lo, 31, v1
	v_sub_nc_u32_e64 v13, v6, v4 clamp
	v_add_nc_u32_e32 v4, 1, v1
	v_add_co_ci_u32_e32 v2, vcc_lo, 0, v1, vcc_lo
	v_cmp_gt_u32_e32 vcc_lo, 30, v1
	s_delay_alu instid0(VALU_DEP_2)
	v_lshlrev_b32_e32 v2, 2, v2
	v_cndmask_b32_e64 v7, 0, 1, vcc_lo
	v_cmp_lt_u32_e32 vcc_lo, v4, v13
	ds_bpermute_b32 v5, v2, v3
	s_waitcnt lgkmcnt(0)
	v_dual_add_f32 v8, v3, v5 :: v_dual_lshlrev_b32 v7, 1, v7
	s_delay_alu instid0(VALU_DEP_1) | instskip(NEXT) | instid1(VALU_DEP_2)
	v_add_lshl_u32 v5, v7, v1, 2
	v_cndmask_b32_e32 v8, v3, v8, vcc_lo
	v_cmp_gt_u32_e32 vcc_lo, 28, v1
	v_cndmask_b32_e64 v3, 0, 1, vcc_lo
	s_delay_alu instid0(VALU_DEP_1) | instskip(SKIP_3) | instid1(VALU_DEP_1)
	v_lshlrev_b32_e32 v9, 2, v3
	ds_bpermute_b32 v7, v5, v8
	s_waitcnt lgkmcnt(0)
	v_dual_add_f32 v10, v8, v7 :: v_dual_add_nc_u32 v3, 2, v1
	v_cmp_lt_u32_e32 vcc_lo, v3, v13
	v_add_lshl_u32 v7, v9, v1, 2
	s_delay_alu instid0(VALU_DEP_3) | instskip(SKIP_2) | instid1(VALU_DEP_1)
	v_cndmask_b32_e32 v10, v8, v10, vcc_lo
	v_cmp_gt_u32_e32 vcc_lo, 24, v1
	v_cndmask_b32_e64 v8, 0, 1, vcc_lo
	v_lshlrev_b32_e32 v11, 3, v8
	ds_bpermute_b32 v9, v7, v10
	v_add_nc_u32_e32 v8, 4, v1
	s_delay_alu instid0(VALU_DEP_1) | instskip(SKIP_3) | instid1(VALU_DEP_2)
	v_cmp_lt_u32_e32 vcc_lo, v8, v13
	s_waitcnt lgkmcnt(0)
	v_add_f32_e32 v12, v10, v9
	v_add_lshl_u32 v9, v11, v1, 2
	v_cndmask_b32_e32 v12, v10, v12, vcc_lo
	v_cmp_gt_u32_e32 vcc_lo, 16, v1
	ds_bpermute_b32 v11, v9, v12
	v_cndmask_b32_e64 v10, 0, 1, vcc_lo
	s_delay_alu instid0(VALU_DEP_1) | instskip(SKIP_1) | instid1(VALU_DEP_1)
	v_lshlrev_b32_e32 v14, 4, v10
	v_add_nc_u32_e32 v10, 8, v1
	v_cmp_lt_u32_e32 vcc_lo, v10, v13
	s_waitcnt lgkmcnt(0)
	v_add_f32_e32 v15, v12, v11
	v_add_lshl_u32 v11, v14, v1, 2
	s_delay_alu instid0(VALU_DEP_2)
	v_cndmask_b32_e32 v14, v12, v15, vcc_lo
	v_add_nc_u32_e32 v12, 16, v1
	ds_bpermute_b32 v15, v11, v14
	v_cmp_lt_u32_e32 vcc_lo, v12, v13
	s_waitcnt lgkmcnt(0)
	v_add_f32_e32 v15, v14, v15
	s_delay_alu instid0(VALU_DEP_1)
	v_cndmask_b32_e32 v13, v14, v15, vcc_lo
	v_cmpx_eq_u32_e32 0, v1
	s_cbranch_execz .LBB13_8
; %bb.7:
	v_lshrrev_b32_e32 v14, 3, v0
	s_delay_alu instid0(VALU_DEP_1)
	v_and_b32_e32 v14, 0x7c, v14
	ds_store_b32 v14, v13
.LBB13_8:
	s_or_b32 exec_lo, exec_lo, s12
	s_delay_alu instid0(SALU_CYCLE_1)
	s_mov_b32 s12, exec_lo
	s_waitcnt lgkmcnt(0)
	s_waitcnt_vscnt null, 0x0
	s_barrier
	buffer_gl0_inv
	v_cmpx_gt_u32_e32 32, v0
	s_cbranch_execz .LBB13_10
; %bb.9:
	v_lshlrev_b32_e32 v1, 2, v1
	v_add_nc_u32_e32 v13, 31, v6
	ds_load_b32 v1, v1
	v_lshrrev_b32_e32 v13, 5, v13
	s_delay_alu instid0(VALU_DEP_1) | instskip(SKIP_4) | instid1(VALU_DEP_1)
	v_cmp_lt_u32_e32 vcc_lo, v4, v13
	s_waitcnt lgkmcnt(0)
	ds_bpermute_b32 v2, v2, v1
	s_waitcnt lgkmcnt(0)
	v_add_f32_e32 v2, v1, v2
	v_cndmask_b32_e32 v1, v1, v2, vcc_lo
	v_cmp_lt_u32_e32 vcc_lo, v3, v13
	ds_bpermute_b32 v2, v5, v1
	s_waitcnt lgkmcnt(0)
	v_add_f32_e32 v2, v1, v2
	s_delay_alu instid0(VALU_DEP_1) | instskip(SKIP_4) | instid1(VALU_DEP_1)
	v_cndmask_b32_e32 v1, v1, v2, vcc_lo
	v_cmp_lt_u32_e32 vcc_lo, v8, v13
	ds_bpermute_b32 v2, v7, v1
	s_waitcnt lgkmcnt(0)
	v_add_f32_e32 v2, v1, v2
	v_cndmask_b32_e32 v1, v1, v2, vcc_lo
	v_cmp_lt_u32_e32 vcc_lo, v10, v13
	ds_bpermute_b32 v2, v9, v1
	s_waitcnt lgkmcnt(0)
	v_add_f32_e32 v2, v1, v2
	s_delay_alu instid0(VALU_DEP_1) | instskip(SKIP_4) | instid1(VALU_DEP_1)
	v_cndmask_b32_e32 v1, v1, v2, vcc_lo
	v_cmp_lt_u32_e32 vcc_lo, v12, v13
	ds_bpermute_b32 v2, v11, v1
	s_waitcnt lgkmcnt(0)
	v_add_f32_e32 v2, v1, v2
	v_cndmask_b32_e32 v13, v1, v2, vcc_lo
.LBB13_10:
	s_or_b32 exec_lo, exec_lo, s12
	s_delay_alu instid0(SALU_CYCLE_1)
	s_mov_b32 s12, exec_lo
	v_cmpx_eq_u32_e32 0, v0
	s_cbranch_execz .LBB13_12
; %bb.11:
	v_cvt_f32_i32_e32 v1, s3
	s_load_b32 s0, s[0:1], 0x30
	s_delay_alu instid0(VALU_DEP_1) | instskip(SKIP_1) | instid1(VALU_DEP_2)
	v_div_scale_f32 v2, null, v1, v1, v13
	v_div_scale_f32 v5, vcc_lo, v13, v1, v13
	v_rcp_f32_e32 v3, v2
	s_waitcnt_depctr 0xfff
	v_fma_f32 v4, -v2, v3, 1.0
	s_delay_alu instid0(VALU_DEP_1) | instskip(NEXT) | instid1(VALU_DEP_1)
	v_fmac_f32_e32 v3, v4, v3
	v_mul_f32_e32 v4, v5, v3
	s_delay_alu instid0(VALU_DEP_1) | instskip(NEXT) | instid1(VALU_DEP_1)
	v_fma_f32 v7, -v2, v4, v5
	v_fmac_f32_e32 v4, v7, v3
	s_delay_alu instid0(VALU_DEP_1) | instskip(NEXT) | instid1(VALU_DEP_1)
	v_fma_f32 v2, -v2, v4, v5
	v_div_fmas_f32 v2, v2, v3, v4
	s_delay_alu instid0(VALU_DEP_1) | instskip(SKIP_1) | instid1(VALU_DEP_1)
	v_div_fixup_f32 v1, v2, v1, v13
	s_waitcnt lgkmcnt(0)
	v_add_f32_e32 v1, s0, v1
	s_delay_alu instid0(VALU_DEP_1) | instskip(SKIP_1) | instid1(VALU_DEP_2)
	v_mul_f32_e32 v2, 0x4b800000, v1
	v_cmp_gt_f32_e32 vcc_lo, 0x800000, v1
	v_cndmask_b32_e32 v1, v1, v2, vcc_lo
	s_delay_alu instid0(VALU_DEP_1) | instskip(SKIP_2) | instid1(VALU_DEP_1)
	v_rsq_f32_e32 v1, v1
	s_waitcnt_depctr 0xfff
	v_mul_f32_e32 v2, 0x45800000, v1
	v_dual_cndmask_b32 v1, v1, v2 :: v_dual_mov_b32 v2, 0
	ds_store_b32 v2, v1 offset:128
.LBB13_12:
	s_or_b32 exec_lo, exec_lo, s12
	s_waitcnt lgkmcnt(0)
	s_barrier
	buffer_gl0_inv
	s_and_saveexec_b32 s0, s2
	s_cbranch_execz .LBB13_25
; %bb.13:
	s_load_b32 s0, s[6:7], 0x0
	s_mov_b32 s2, 0
	s_mov_b32 s6, 0x43600000
	s_waitcnt lgkmcnt(0)
	v_div_scale_f32 v1, null, s0, s0, 1.0
	v_div_scale_f32 v4, vcc_lo, 1.0, s0, 1.0
	s_delay_alu instid0(VALU_DEP_2) | instskip(SKIP_2) | instid1(VALU_DEP_1)
	v_rcp_f32_e32 v2, v1
	s_waitcnt_depctr 0xfff
	v_fma_f32 v3, -v1, v2, 1.0
	v_dual_fmac_f32 v2, v3, v2 :: v_dual_mov_b32 v3, 0
	s_delay_alu instid0(VALU_DEP_1) | instskip(NEXT) | instid1(VALU_DEP_1)
	v_mul_f32_e32 v5, v4, v2
	v_fma_f32 v7, -v1, v5, v4
	s_delay_alu instid0(VALU_DEP_1) | instskip(SKIP_2) | instid1(VALU_DEP_1)
	v_fmac_f32_e32 v5, v7, v2
	ds_load_b32 v7, v3 offset:128
	v_fma_f32 v1, -v1, v5, v4
	v_div_fmas_f32 v1, v1, v2, v5
	s_delay_alu instid0(VALU_DEP_1)
	v_div_fixup_f32 v8, v1, s0, 1.0
	s_branch .LBB13_18
.LBB13_14:                              ;   in Loop: Header=BB13_18 Depth=1
	s_or_b32 exec_lo, exec_lo, s0
	s_delay_alu instid0(VALU_DEP_2) | instskip(NEXT) | instid1(VALU_DEP_2)
	v_lshrrev_b64 v[4:5], 20, v[4:5]
	v_cmp_gt_i32_e32 vcc_lo, 16, v9
	v_and_b32_e32 v1, 0x80, v1
	v_min_i32_e32 v10, 15, v9
	v_cmp_eq_u32_e64 s0, 0, v9
	v_dual_cndmask_b32 v4, 7, v4 :: v_dual_cndmask_b32 v5, 0, v5
	s_delay_alu instid0(VALU_DEP_3) | instskip(NEXT) | instid1(VALU_DEP_2)
	v_lshl_or_b32 v1, v10, 3, v1
	v_cmp_eq_u64_e32 vcc_lo, 0, v[4:5]
	s_delay_alu instid0(VALU_DEP_2)
	v_and_or_b32 v1, v4, 7, v1
	s_and_b32 s0, s0, vcc_lo
	s_delay_alu instid0(VALU_DEP_1) | instid1(SALU_CYCLE_1)
	v_cndmask_b32_e64 v4, v1, 0, s0
.LBB13_15:                              ;   in Loop: Header=BB13_18 Depth=1
	s_or_b32 exec_lo, exec_lo, s13
.LBB13_16:                              ;   in Loop: Header=BB13_18 Depth=1
	s_and_not1_saveexec_b32 s0, s12
	s_delay_alu instid0(SALU_CYCLE_1)
	s_or_b32 exec_lo, exec_lo, s0
.LBB13_17:                              ;   in Loop: Header=BB13_18 Depth=1
	s_and_not1_saveexec_b32 s0, s7
	s_delay_alu instid0(SALU_CYCLE_1) | instskip(SKIP_2) | instid1(VALU_DEP_1)
	s_or_b32 exec_lo, exec_lo, s0
	v_add_nc_u32_e32 v0, v0, v6
	v_add_co_u32 v1, s0, s10, v2
	v_add_co_ci_u32_e64 v2, null, s11, 0, s0
	s_delay_alu instid0(VALU_DEP_3) | instskip(SKIP_2) | instid1(SALU_CYCLE_1)
	v_cmp_le_i32_e32 vcc_lo, s3, v0
	global_store_b8 v[1:2], v4, off
	s_or_b32 s2, vcc_lo, s2
	s_and_not1_b32 exec_lo, exec_lo, s2
	s_cbranch_execz .LBB13_25
.LBB13_18:                              ; =>This Inner Loop Header: Depth=1
	v_add_nc_u32_e32 v2, s14, v0
	v_ashrrev_i32_e32 v1, 31, v0
	s_mov_b32 s0, exec_lo
	s_delay_alu instid0(VALU_DEP_2) | instskip(NEXT) | instid1(VALU_DEP_2)
	v_lshlrev_b64 v[4:5], 2, v[2:3]
	v_lshlrev_b64 v[9:10], 2, v[0:1]
	s_delay_alu instid0(VALU_DEP_2) | instskip(NEXT) | instid1(VALU_DEP_3)
	v_add_co_u32 v4, vcc_lo, s8, v4
	v_add_co_ci_u32_e32 v5, vcc_lo, s9, v5, vcc_lo
	s_delay_alu instid0(VALU_DEP_3) | instskip(NEXT) | instid1(VALU_DEP_4)
	v_add_co_u32 v9, vcc_lo, s4, v9
	v_add_co_ci_u32_e32 v10, vcc_lo, s5, v10, vcc_lo
	global_load_b32 v1, v[4:5], off
	global_load_b32 v4, v[9:10], off
	s_waitcnt vmcnt(1) lgkmcnt(0)
	v_dual_mov_b32 v10, v3 :: v_dual_mul_f32 v1, v1, v7
	s_waitcnt vmcnt(0)
	s_delay_alu instid0(VALU_DEP_1) | instskip(NEXT) | instid1(VALU_DEP_1)
	v_mul_f32_e32 v1, v1, v4
	v_mul_f32_e32 v1, v8, v1
	s_delay_alu instid0(VALU_DEP_1) | instskip(NEXT) | instid1(VALU_DEP_1)
	v_minmax_f32 v5, v1, s6, 0xc3600000
	v_lshrrev_b32_e32 v1, 24, v5
	v_and_b32_e32 v9, 0x7f800000, v5
	s_delay_alu instid0(VALU_DEP_2) | instskip(NEXT) | instid1(VALU_DEP_2)
	v_or_b32_e32 v4, 0x7f, v1
	v_cmpx_ne_u64_e32 0x7f800000, v[9:10]
	s_xor_b32 s7, exec_lo, s0
	s_cbranch_execz .LBB13_17
; %bb.19:                               ;   in Loop: Header=BB13_18 Depth=1
	v_dual_mov_b32 v10, v3 :: v_dual_and_b32 v9, 0x7fffffff, v5
	s_mov_b32 s0, exec_lo
	s_delay_alu instid0(VALU_DEP_1)
	v_cmpx_gt_u64_e32 0x43700001, v[9:10]
	s_xor_b32 s12, exec_lo, s0
	s_cbranch_execz .LBB13_16
; %bb.20:                               ;   in Loop: Header=BB13_18 Depth=1
	v_mov_b32_e32 v4, 0
	s_mov_b32 s13, exec_lo
	v_cmpx_ne_u32_e32 0, v5
	s_cbranch_execz .LBB13_15
; %bb.21:                               ;   in Loop: Header=BB13_18 Depth=1
	v_bfe_u32 v11, v5, 23, 8
	v_and_b32_e32 v9, 0x7fffff, v5
	v_mov_b32_e32 v5, v3
	s_delay_alu instid0(VALU_DEP_3) | instskip(SKIP_2) | instid1(VALU_DEP_3)
	v_sub_nc_u32_e64 v4, 0x78, v11 clamp
	v_cmp_eq_u32_e32 vcc_lo, 0, v11
	v_add_nc_u32_e32 v11, 0xffffff89, v11
	v_cndmask_b32_e64 v16, v4, 0x77, vcc_lo
	v_or_b32_e32 v4, 0x800000, v9
	s_delay_alu instid0(VALU_DEP_2) | instskip(NEXT) | instid1(VALU_DEP_2)
	v_add_nc_u32_e32 v10, 20, v16
	v_cndmask_b32_e32 v4, v4, v9, vcc_lo
	v_add_nc_u32_e32 v14, 19, v16
	s_delay_alu instid0(VALU_DEP_3) | instskip(NEXT) | instid1(VALU_DEP_3)
	v_lshlrev_b64 v[9:10], v10, -1
	v_lshrrev_b64 v[12:13], v16, v[4:5]
	s_delay_alu instid0(VALU_DEP_3) | instskip(SKIP_1) | instid1(VALU_DEP_4)
	v_lshlrev_b64 v[14:15], v14, 1
	v_mov_b32_e32 v10, v3
	v_not_b32_e32 v17, v9
	s_delay_alu instid0(VALU_DEP_4) | instskip(NEXT) | instid1(VALU_DEP_2)
	v_and_b32_e32 v9, 0x100000, v12
	v_and_b32_e32 v4, v4, v17
	s_delay_alu instid0(VALU_DEP_2) | instskip(NEXT) | instid1(VALU_DEP_2)
	v_cmp_eq_u64_e64 s0, 0, v[9:10]
	v_cmp_eq_u64_e64 s1, v[4:5], v[14:15]
	v_cndmask_b32_e64 v4, v11, 0xffffff8a, vcc_lo
	v_lshrrev_b32_e32 v5, 23, v12
	s_delay_alu instid0(VALU_DEP_3) | instskip(NEXT) | instid1(VALU_DEP_1)
	s_and_b32 vcc_lo, s0, s1
	v_add3_u32 v10, v4, v16, v5
	v_subrev_co_ci_u32_e32 v9, vcc_lo, 0, v12, vcc_lo
	s_mov_b32 s0, exec_lo
	s_delay_alu instid0(VALU_DEP_2) | instskip(NEXT) | instid1(VALU_DEP_2)
	v_add_nc_u32_e32 v11, -1, v10
	v_and_b32_e32 v4, 0xfffff, v9
                                        ; implicit-def: $vgpr9
	s_delay_alu instid0(VALU_DEP_1) | instskip(SKIP_1) | instid1(VALU_DEP_4)
	v_add_co_u32 v4, vcc_lo, v4, v12
	v_add_co_ci_u32_e32 v5, vcc_lo, 0, v13, vcc_lo
	v_cmpx_ne_u32_e32 0, v11
	s_xor_b32 s0, exec_lo, s0
; %bb.22:                               ;   in Loop: Header=BB13_18 Depth=1
	s_delay_alu instid0(VALU_DEP_3) | instskip(SKIP_1) | instid1(VALU_DEP_2)
	v_dual_mov_b32 v13, v3 :: v_dual_and_b32 v12, 0x1000000, v4
	v_bfe_u32 v9, v4, 24, 1
	v_cmp_eq_u64_e32 vcc_lo, 0, v[12:13]
	s_delay_alu instid0(VALU_DEP_2)
	v_lshrrev_b64 v[4:5], v9, v[4:5]
	v_cndmask_b32_e32 v9, v10, v11, vcc_lo
; %bb.23:                               ;   in Loop: Header=BB13_18 Depth=1
	s_and_not1_saveexec_b32 s0, s0
	s_cbranch_execz .LBB13_14
; %bb.24:                               ;   in Loop: Header=BB13_18 Depth=1
	s_delay_alu instid0(VALU_DEP_2)
	v_bfe_u32 v9, v4, 23, 1
	s_branch .LBB13_14
.LBB13_25:
	s_nop 0
	s_sendmsg sendmsg(MSG_DEALLOC_VGPRS)
	s_endpgm
	.section	.rodata,"a",@progbits
	.p2align	6, 0x0
	.amdhsa_kernel _ZN4vllm42fused_add_rms_norm_static_fp8_quant_kernelIfLi0EN3c1015Float8_e4m3fnuzEEENSt9enable_ifIXooeqT0_Li0Entsr12_typeConvertIT_EE6existsEvE4typeEPT1_PS4_iS9_PKS4_PKffii
		.amdhsa_group_segment_fixed_size 132
		.amdhsa_private_segment_fixed_size 0
		.amdhsa_kernarg_size 320
		.amdhsa_user_sgpr_count 15
		.amdhsa_user_sgpr_dispatch_ptr 0
		.amdhsa_user_sgpr_queue_ptr 0
		.amdhsa_user_sgpr_kernarg_segment_ptr 1
		.amdhsa_user_sgpr_dispatch_id 0
		.amdhsa_user_sgpr_private_segment_size 0
		.amdhsa_wavefront_size32 1
		.amdhsa_uses_dynamic_stack 0
		.amdhsa_enable_private_segment 0
		.amdhsa_system_sgpr_workgroup_id_x 1
		.amdhsa_system_sgpr_workgroup_id_y 0
		.amdhsa_system_sgpr_workgroup_id_z 0
		.amdhsa_system_sgpr_workgroup_info 0
		.amdhsa_system_vgpr_workitem_id 0
		.amdhsa_next_free_vgpr 18
		.amdhsa_next_free_sgpr 19
		.amdhsa_reserve_vcc 1
		.amdhsa_float_round_mode_32 0
		.amdhsa_float_round_mode_16_64 0
		.amdhsa_float_denorm_mode_32 3
		.amdhsa_float_denorm_mode_16_64 3
		.amdhsa_dx10_clamp 1
		.amdhsa_ieee_mode 1
		.amdhsa_fp16_overflow 0
		.amdhsa_workgroup_processor_mode 1
		.amdhsa_memory_ordered 1
		.amdhsa_forward_progress 0
		.amdhsa_shared_vgpr_count 0
		.amdhsa_exception_fp_ieee_invalid_op 0
		.amdhsa_exception_fp_denorm_src 0
		.amdhsa_exception_fp_ieee_div_zero 0
		.amdhsa_exception_fp_ieee_overflow 0
		.amdhsa_exception_fp_ieee_underflow 0
		.amdhsa_exception_fp_ieee_inexact 0
		.amdhsa_exception_int_div_zero 0
	.end_amdhsa_kernel
	.section	.text._ZN4vllm42fused_add_rms_norm_static_fp8_quant_kernelIfLi0EN3c1015Float8_e4m3fnuzEEENSt9enable_ifIXooeqT0_Li0Entsr12_typeConvertIT_EE6existsEvE4typeEPT1_PS4_iS9_PKS4_PKffii,"axG",@progbits,_ZN4vllm42fused_add_rms_norm_static_fp8_quant_kernelIfLi0EN3c1015Float8_e4m3fnuzEEENSt9enable_ifIXooeqT0_Li0Entsr12_typeConvertIT_EE6existsEvE4typeEPT1_PS4_iS9_PKS4_PKffii,comdat
.Lfunc_end13:
	.size	_ZN4vllm42fused_add_rms_norm_static_fp8_quant_kernelIfLi0EN3c1015Float8_e4m3fnuzEEENSt9enable_ifIXooeqT0_Li0Entsr12_typeConvertIT_EE6existsEvE4typeEPT1_PS4_iS9_PKS4_PKffii, .Lfunc_end13-_ZN4vllm42fused_add_rms_norm_static_fp8_quant_kernelIfLi0EN3c1015Float8_e4m3fnuzEEENSt9enable_ifIXooeqT0_Li0Entsr12_typeConvertIT_EE6existsEvE4typeEPT1_PS4_iS9_PKS4_PKffii
                                        ; -- End function
	.section	.AMDGPU.csdata,"",@progbits
; Kernel info:
; codeLenInByte = 1912
; NumSgprs: 21
; NumVgprs: 18
; ScratchSize: 0
; MemoryBound: 0
; FloatMode: 240
; IeeeMode: 1
; LDSByteSize: 132 bytes/workgroup (compile time only)
; SGPRBlocks: 2
; VGPRBlocks: 2
; NumSGPRsForWavesPerEU: 21
; NumVGPRsForWavesPerEU: 18
; Occupancy: 16
; WaveLimiterHint : 0
; COMPUTE_PGM_RSRC2:SCRATCH_EN: 0
; COMPUTE_PGM_RSRC2:USER_SGPR: 15
; COMPUTE_PGM_RSRC2:TRAP_HANDLER: 0
; COMPUTE_PGM_RSRC2:TGID_X_EN: 1
; COMPUTE_PGM_RSRC2:TGID_Y_EN: 0
; COMPUTE_PGM_RSRC2:TGID_Z_EN: 0
; COMPUTE_PGM_RSRC2:TIDIG_COMP_CNT: 0
	.section	.text._ZN4vllm42fused_add_rms_norm_static_fp8_quant_kernelIN3c104HalfELi0ENS1_13Float8_e4m3fnEEENSt9enable_ifIXooeqT0_Li0Entsr12_typeConvertIT_EE6existsEvE4typeEPT1_PS5_iSA_PKS5_PKffii,"axG",@progbits,_ZN4vllm42fused_add_rms_norm_static_fp8_quant_kernelIN3c104HalfELi0ENS1_13Float8_e4m3fnEEENSt9enable_ifIXooeqT0_Li0Entsr12_typeConvertIT_EE6existsEvE4typeEPT1_PS5_iSA_PKS5_PKffii,comdat
	.protected	_ZN4vllm42fused_add_rms_norm_static_fp8_quant_kernelIN3c104HalfELi0ENS1_13Float8_e4m3fnEEENSt9enable_ifIXooeqT0_Li0Entsr12_typeConvertIT_EE6existsEvE4typeEPT1_PS5_iSA_PKS5_PKffii ; -- Begin function _ZN4vllm42fused_add_rms_norm_static_fp8_quant_kernelIN3c104HalfELi0ENS1_13Float8_e4m3fnEEENSt9enable_ifIXooeqT0_Li0Entsr12_typeConvertIT_EE6existsEvE4typeEPT1_PS5_iSA_PKS5_PKffii
	.globl	_ZN4vllm42fused_add_rms_norm_static_fp8_quant_kernelIN3c104HalfELi0ENS1_13Float8_e4m3fnEEENSt9enable_ifIXooeqT0_Li0Entsr12_typeConvertIT_EE6existsEvE4typeEPT1_PS5_iSA_PKS5_PKffii
	.p2align	8
	.type	_ZN4vllm42fused_add_rms_norm_static_fp8_quant_kernelIN3c104HalfELi0ENS1_13Float8_e4m3fnEEENSt9enable_ifIXooeqT0_Li0Entsr12_typeConvertIT_EE6existsEvE4typeEPT1_PS5_iSA_PKS5_PKffii,@function
_ZN4vllm42fused_add_rms_norm_static_fp8_quant_kernelIN3c104HalfELi0ENS1_13Float8_e4m3fnEEENSt9enable_ifIXooeqT0_Li0Entsr12_typeConvertIT_EE6existsEvE4typeEPT1_PS5_iSA_PKS5_PKffii: ; @_ZN4vllm42fused_add_rms_norm_static_fp8_quant_kernelIN3c104HalfELi0ENS1_13Float8_e4m3fnEEENSt9enable_ifIXooeqT0_Li0Entsr12_typeConvertIT_EE6existsEvE4typeEPT1_PS5_iSA_PKS5_PKffii
; %bb.0:
	s_clause 0x1
	s_load_b32 s3, s[0:1], 0x38
	s_load_b64 s[8:9], s[0:1], 0x18
	s_mov_b32 s4, exec_lo
                                        ; implicit-def: $sgpr13
                                        ; implicit-def: $sgpr12
	s_waitcnt lgkmcnt(0)
	v_cmp_gt_i32_e64 s2, s3, v0
	v_cmpx_le_i32_e64 s3, v0
	s_xor_b32 s4, exec_lo, s4
	s_cbranch_execz .LBB14_2
; %bb.1:
	s_load_b32 s5, s[0:1], 0x4c
	s_mov_b32 s13, 0
	s_waitcnt lgkmcnt(0)
	s_and_b32 s12, s5, 0xffff
.LBB14_2:
	s_or_saveexec_b32 s16, s4
	s_clause 0x1
	s_load_b64 s[10:11], s[0:1], 0x0
	s_load_b128 s[4:7], s[0:1], 0x20
	v_dual_mov_b32 v3, s13 :: v_dual_mov_b32 v6, s12
	s_mul_i32 s14, s15, s3
	s_xor_b32 exec_lo, exec_lo, s16
	s_cbranch_execz .LBB14_6
; %bb.3:
	s_clause 0x2
	s_load_b32 s17, s[0:1], 0x10
	s_load_b32 s18, s[0:1], 0x4c
	s_load_b64 s[12:13], s[0:1], 0x8
	v_dual_mov_b32 v2, 0 :: v_dual_mov_b32 v3, 0
	v_mov_b32_e32 v4, v0
	s_waitcnt lgkmcnt(0)
	s_mul_i32 s17, s15, s17
	s_and_b32 s15, s18, 0xffff
	s_mov_b32 s18, 0
	.p2align	6
.LBB14_4:                               ; =>This Inner Loop Header: Depth=1
	v_add_nc_u32_e32 v1, s17, v4
	s_delay_alu instid0(VALU_DEP_1) | instskip(SKIP_2) | instid1(VALU_DEP_2)
	v_lshlrev_b64 v[5:6], 1, v[1:2]
	v_add_nc_u32_e32 v1, s14, v4
	v_add_nc_u32_e32 v4, s15, v4
	v_lshlrev_b64 v[7:8], 1, v[1:2]
	s_delay_alu instid0(VALU_DEP_4) | instskip(SKIP_1) | instid1(VALU_DEP_3)
	v_add_co_u32 v5, vcc_lo, s12, v5
	v_add_co_ci_u32_e32 v6, vcc_lo, s13, v6, vcc_lo
	v_add_co_u32 v7, vcc_lo, s8, v7
	s_delay_alu instid0(VALU_DEP_4)
	v_add_co_ci_u32_e32 v8, vcc_lo, s9, v8, vcc_lo
	v_cmp_le_i32_e32 vcc_lo, s3, v4
	global_load_u16 v1, v[5:6], off
	global_load_u16 v5, v[7:8], off
	s_or_b32 s18, vcc_lo, s18
	s_waitcnt vmcnt(0)
	v_add_f16_e32 v1, v1, v5
	s_delay_alu instid0(VALU_DEP_1)
	v_fma_mix_f32 v3, v1, v1, v3 op_sel_hi:[1,1,0]
	global_store_b16 v[7:8], v1, off
	s_and_not1_b32 exec_lo, exec_lo, s18
	s_cbranch_execnz .LBB14_4
; %bb.5:
	s_or_b32 exec_lo, exec_lo, s18
	v_mov_b32_e32 v6, s15
.LBB14_6:
	s_or_b32 exec_lo, exec_lo, s16
	v_mbcnt_lo_u32_b32 v1, -1, 0
	v_and_b32_e32 v4, 0x3e0, v0
	s_mov_b32 s12, exec_lo
	s_delay_alu instid0(VALU_DEP_2) | instskip(NEXT) | instid1(VALU_DEP_2)
	v_cmp_ne_u32_e32 vcc_lo, 31, v1
	v_sub_nc_u32_e64 v13, v6, v4 clamp
	v_add_nc_u32_e32 v4, 1, v1
	v_add_co_ci_u32_e32 v2, vcc_lo, 0, v1, vcc_lo
	v_cmp_gt_u32_e32 vcc_lo, 30, v1
	s_delay_alu instid0(VALU_DEP_2)
	v_lshlrev_b32_e32 v2, 2, v2
	v_cndmask_b32_e64 v7, 0, 1, vcc_lo
	v_cmp_lt_u32_e32 vcc_lo, v4, v13
	ds_bpermute_b32 v5, v2, v3
	s_waitcnt lgkmcnt(0)
	v_dual_add_f32 v8, v3, v5 :: v_dual_lshlrev_b32 v7, 1, v7
	s_delay_alu instid0(VALU_DEP_1) | instskip(NEXT) | instid1(VALU_DEP_2)
	v_add_lshl_u32 v5, v7, v1, 2
	v_cndmask_b32_e32 v8, v3, v8, vcc_lo
	v_cmp_gt_u32_e32 vcc_lo, 28, v1
	v_cndmask_b32_e64 v3, 0, 1, vcc_lo
	s_delay_alu instid0(VALU_DEP_1) | instskip(SKIP_3) | instid1(VALU_DEP_1)
	v_lshlrev_b32_e32 v9, 2, v3
	ds_bpermute_b32 v7, v5, v8
	s_waitcnt lgkmcnt(0)
	v_dual_add_f32 v10, v8, v7 :: v_dual_add_nc_u32 v3, 2, v1
	v_cmp_lt_u32_e32 vcc_lo, v3, v13
	v_add_lshl_u32 v7, v9, v1, 2
	s_delay_alu instid0(VALU_DEP_3) | instskip(SKIP_2) | instid1(VALU_DEP_1)
	v_cndmask_b32_e32 v10, v8, v10, vcc_lo
	v_cmp_gt_u32_e32 vcc_lo, 24, v1
	v_cndmask_b32_e64 v8, 0, 1, vcc_lo
	v_lshlrev_b32_e32 v11, 3, v8
	ds_bpermute_b32 v9, v7, v10
	v_add_nc_u32_e32 v8, 4, v1
	s_delay_alu instid0(VALU_DEP_1) | instskip(SKIP_3) | instid1(VALU_DEP_2)
	v_cmp_lt_u32_e32 vcc_lo, v8, v13
	s_waitcnt lgkmcnt(0)
	v_add_f32_e32 v12, v10, v9
	v_add_lshl_u32 v9, v11, v1, 2
	v_cndmask_b32_e32 v12, v10, v12, vcc_lo
	v_cmp_gt_u32_e32 vcc_lo, 16, v1
	ds_bpermute_b32 v11, v9, v12
	v_cndmask_b32_e64 v10, 0, 1, vcc_lo
	s_delay_alu instid0(VALU_DEP_1) | instskip(SKIP_1) | instid1(VALU_DEP_1)
	v_lshlrev_b32_e32 v14, 4, v10
	v_add_nc_u32_e32 v10, 8, v1
	v_cmp_lt_u32_e32 vcc_lo, v10, v13
	s_waitcnt lgkmcnt(0)
	v_add_f32_e32 v15, v12, v11
	v_add_lshl_u32 v11, v14, v1, 2
	s_delay_alu instid0(VALU_DEP_2)
	v_cndmask_b32_e32 v14, v12, v15, vcc_lo
	v_add_nc_u32_e32 v12, 16, v1
	ds_bpermute_b32 v15, v11, v14
	v_cmp_lt_u32_e32 vcc_lo, v12, v13
	s_waitcnt lgkmcnt(0)
	v_add_f32_e32 v15, v14, v15
	s_delay_alu instid0(VALU_DEP_1)
	v_cndmask_b32_e32 v13, v14, v15, vcc_lo
	v_cmpx_eq_u32_e32 0, v1
	s_cbranch_execz .LBB14_8
; %bb.7:
	v_lshrrev_b32_e32 v14, 3, v0
	s_delay_alu instid0(VALU_DEP_1)
	v_and_b32_e32 v14, 0x7c, v14
	ds_store_b32 v14, v13
.LBB14_8:
	s_or_b32 exec_lo, exec_lo, s12
	s_delay_alu instid0(SALU_CYCLE_1)
	s_mov_b32 s12, exec_lo
	s_waitcnt lgkmcnt(0)
	s_waitcnt_vscnt null, 0x0
	s_barrier
	buffer_gl0_inv
	v_cmpx_gt_u32_e32 32, v0
	s_cbranch_execz .LBB14_10
; %bb.9:
	v_lshlrev_b32_e32 v1, 2, v1
	v_add_nc_u32_e32 v13, 31, v6
	ds_load_b32 v1, v1
	v_lshrrev_b32_e32 v13, 5, v13
	s_delay_alu instid0(VALU_DEP_1) | instskip(SKIP_4) | instid1(VALU_DEP_1)
	v_cmp_lt_u32_e32 vcc_lo, v4, v13
	s_waitcnt lgkmcnt(0)
	ds_bpermute_b32 v2, v2, v1
	s_waitcnt lgkmcnt(0)
	v_add_f32_e32 v2, v1, v2
	v_cndmask_b32_e32 v1, v1, v2, vcc_lo
	v_cmp_lt_u32_e32 vcc_lo, v3, v13
	ds_bpermute_b32 v2, v5, v1
	s_waitcnt lgkmcnt(0)
	v_add_f32_e32 v2, v1, v2
	s_delay_alu instid0(VALU_DEP_1) | instskip(SKIP_4) | instid1(VALU_DEP_1)
	v_cndmask_b32_e32 v1, v1, v2, vcc_lo
	v_cmp_lt_u32_e32 vcc_lo, v8, v13
	ds_bpermute_b32 v2, v7, v1
	s_waitcnt lgkmcnt(0)
	v_add_f32_e32 v2, v1, v2
	v_cndmask_b32_e32 v1, v1, v2, vcc_lo
	v_cmp_lt_u32_e32 vcc_lo, v10, v13
	ds_bpermute_b32 v2, v9, v1
	s_waitcnt lgkmcnt(0)
	v_add_f32_e32 v2, v1, v2
	s_delay_alu instid0(VALU_DEP_1) | instskip(SKIP_4) | instid1(VALU_DEP_1)
	v_cndmask_b32_e32 v1, v1, v2, vcc_lo
	v_cmp_lt_u32_e32 vcc_lo, v12, v13
	ds_bpermute_b32 v2, v11, v1
	s_waitcnt lgkmcnt(0)
	v_add_f32_e32 v2, v1, v2
	v_cndmask_b32_e32 v13, v1, v2, vcc_lo
.LBB14_10:
	s_or_b32 exec_lo, exec_lo, s12
	s_delay_alu instid0(SALU_CYCLE_1)
	s_mov_b32 s12, exec_lo
	v_cmpx_eq_u32_e32 0, v0
	s_cbranch_execz .LBB14_12
; %bb.11:
	v_cvt_f32_i32_e32 v1, s3
	s_load_b32 s0, s[0:1], 0x30
	s_delay_alu instid0(VALU_DEP_1) | instskip(SKIP_1) | instid1(VALU_DEP_2)
	v_div_scale_f32 v2, null, v1, v1, v13
	v_div_scale_f32 v5, vcc_lo, v13, v1, v13
	v_rcp_f32_e32 v3, v2
	s_waitcnt_depctr 0xfff
	v_fma_f32 v4, -v2, v3, 1.0
	s_delay_alu instid0(VALU_DEP_1) | instskip(NEXT) | instid1(VALU_DEP_1)
	v_fmac_f32_e32 v3, v4, v3
	v_mul_f32_e32 v4, v5, v3
	s_delay_alu instid0(VALU_DEP_1) | instskip(NEXT) | instid1(VALU_DEP_1)
	v_fma_f32 v7, -v2, v4, v5
	v_fmac_f32_e32 v4, v7, v3
	s_delay_alu instid0(VALU_DEP_1) | instskip(NEXT) | instid1(VALU_DEP_1)
	v_fma_f32 v2, -v2, v4, v5
	v_div_fmas_f32 v2, v2, v3, v4
	s_delay_alu instid0(VALU_DEP_1) | instskip(SKIP_1) | instid1(VALU_DEP_1)
	v_div_fixup_f32 v1, v2, v1, v13
	s_waitcnt lgkmcnt(0)
	v_add_f32_e32 v1, s0, v1
	s_delay_alu instid0(VALU_DEP_1) | instskip(SKIP_1) | instid1(VALU_DEP_2)
	v_mul_f32_e32 v2, 0x4b800000, v1
	v_cmp_gt_f32_e32 vcc_lo, 0x800000, v1
	v_cndmask_b32_e32 v1, v1, v2, vcc_lo
	s_delay_alu instid0(VALU_DEP_1) | instskip(SKIP_2) | instid1(VALU_DEP_1)
	v_rsq_f32_e32 v1, v1
	s_waitcnt_depctr 0xfff
	v_mul_f32_e32 v2, 0x45800000, v1
	v_dual_cndmask_b32 v1, v1, v2 :: v_dual_mov_b32 v2, 0
	ds_store_b32 v2, v1 offset:128
.LBB14_12:
	s_or_b32 exec_lo, exec_lo, s12
	s_waitcnt lgkmcnt(0)
	s_barrier
	buffer_gl0_inv
	s_and_saveexec_b32 s0, s2
	s_cbranch_execz .LBB14_31
; %bb.13:
	s_load_b32 s0, s[6:7], 0x0
	s_mov_b32 s2, 0
	s_mov_b32 s6, 0x43e00000
	s_waitcnt lgkmcnt(0)
	v_div_scale_f32 v1, null, s0, s0, 1.0
	v_div_scale_f32 v4, vcc_lo, 1.0, s0, 1.0
	s_delay_alu instid0(VALU_DEP_2) | instskip(SKIP_2) | instid1(VALU_DEP_1)
	v_rcp_f32_e32 v2, v1
	s_waitcnt_depctr 0xfff
	v_fma_f32 v3, -v1, v2, 1.0
	v_dual_fmac_f32 v2, v3, v2 :: v_dual_mov_b32 v3, 0
	s_delay_alu instid0(VALU_DEP_1) | instskip(NEXT) | instid1(VALU_DEP_1)
	v_mul_f32_e32 v5, v4, v2
	v_fma_f32 v7, -v1, v5, v4
	s_delay_alu instid0(VALU_DEP_1) | instskip(SKIP_2) | instid1(VALU_DEP_1)
	v_fmac_f32_e32 v5, v7, v2
	ds_load_b32 v7, v3 offset:128
	v_fma_f32 v1, -v1, v5, v4
	v_div_fmas_f32 v1, v1, v2, v5
	s_delay_alu instid0(VALU_DEP_1)
	v_div_fixup_f32 v8, v1, s0, 1.0
	s_branch .LBB14_15
.LBB14_14:                              ;   in Loop: Header=BB14_15 Depth=1
	s_or_b32 exec_lo, exec_lo, s0
	v_add_nc_u32_e32 v0, v0, v6
	v_add_co_u32 v1, s0, s10, v2
	s_delay_alu instid0(VALU_DEP_1) | instskip(NEXT) | instid1(VALU_DEP_3)
	v_add_co_ci_u32_e64 v2, null, s11, 0, s0
	v_cmp_le_i32_e32 vcc_lo, s3, v0
	global_store_b8 v[1:2], v9, off
	s_or_b32 s2, vcc_lo, s2
	s_delay_alu instid0(SALU_CYCLE_1)
	s_and_not1_b32 exec_lo, exec_lo, s2
	s_cbranch_execz .LBB14_31
.LBB14_15:                              ; =>This Inner Loop Header: Depth=1
	v_add_nc_u32_e32 v2, s14, v0
	v_ashrrev_i32_e32 v1, 31, v0
	s_mov_b32 s0, exec_lo
	v_mov_b32_e32 v13, v3
	s_delay_alu instid0(VALU_DEP_3) | instskip(NEXT) | instid1(VALU_DEP_3)
	v_lshlrev_b64 v[4:5], 1, v[2:3]
	v_lshlrev_b64 v[9:10], 1, v[0:1]
	s_delay_alu instid0(VALU_DEP_2) | instskip(NEXT) | instid1(VALU_DEP_3)
	v_add_co_u32 v4, vcc_lo, s8, v4
	v_add_co_ci_u32_e32 v5, vcc_lo, s9, v5, vcc_lo
	global_load_u16 v1, v[4:5], off
	v_add_co_u32 v4, vcc_lo, s4, v9
	v_add_co_ci_u32_e32 v5, vcc_lo, s5, v10, vcc_lo
	global_load_u16 v4, v[4:5], off
	v_mov_b32_e32 v5, v3
	s_waitcnt vmcnt(1) lgkmcnt(0)
	v_fma_mixlo_f16 v1, v7, v1, 0 op_sel_hi:[0,1,0]
	s_waitcnt vmcnt(0)
	s_delay_alu instid0(VALU_DEP_1) | instskip(NEXT) | instid1(VALU_DEP_1)
	v_mul_f16_e32 v1, v4, v1
	v_cvt_f32_f16_e32 v1, v1
	s_delay_alu instid0(VALU_DEP_1) | instskip(NEXT) | instid1(VALU_DEP_1)
	v_mul_f32_e32 v1, v8, v1
	v_minmax_f32 v10, v1, s6, 0xc3e00000
	s_delay_alu instid0(VALU_DEP_1) | instskip(SKIP_2) | instid1(VALU_DEP_3)
	v_lshrrev_b32_e32 v11, 24, v10
	v_and_b32_e32 v12, 0x7f800000, v10
	v_and_b32_e32 v4, 0x7fffff, v10
	;; [unrolled: 1-line block ×3, first 2 shown]
	s_delay_alu instid0(VALU_DEP_1) | instskip(NEXT) | instid1(VALU_DEP_4)
	v_or_b32_e32 v9, 0x7e, v1
	v_cmpx_ne_u64_e32 0x7f800000, v[12:13]
	s_xor_b32 s7, exec_lo, s0
	s_cbranch_execz .LBB14_29
; %bb.16:                               ;   in Loop: Header=BB14_15 Depth=1
	v_dual_mov_b32 v12, v3 :: v_dual_and_b32 v11, 0x7fffffff, v10
	s_mov_b32 s0, exec_lo
	s_delay_alu instid0(VALU_DEP_1)
	v_cmpx_gt_u64_e32 0x43e00001, v[11:12]
	s_xor_b32 s12, exec_lo, s0
	s_cbranch_execz .LBB14_28
; %bb.17:                               ;   in Loop: Header=BB14_15 Depth=1
	v_mov_b32_e32 v9, 0
	s_mov_b32 s13, exec_lo
	v_cmpx_ne_u32_e32 0, v10
	s_cbranch_execz .LBB14_27
; %bb.18:                               ;   in Loop: Header=BB14_15 Depth=1
	v_bfe_u32 v11, v10, 23, 8
	s_delay_alu instid0(VALU_DEP_1) | instskip(SKIP_2) | instid1(VALU_DEP_3)
	v_sub_nc_u32_e64 v9, 0x79, v11 clamp
	v_cmp_eq_u32_e32 vcc_lo, 0, v11
	v_add_nc_u32_e32 v11, 0xffffff88, v11
	v_cndmask_b32_e64 v16, v9, 0x78, vcc_lo
	v_or_b32_e32 v9, 0x800000, v4
	s_delay_alu instid0(VALU_DEP_2) | instskip(NEXT) | instid1(VALU_DEP_2)
	v_add_nc_u32_e32 v10, 20, v16
	v_cndmask_b32_e32 v4, v9, v4, vcc_lo
	v_add_nc_u32_e32 v14, 19, v16
	s_delay_alu instid0(VALU_DEP_3) | instskip(NEXT) | instid1(VALU_DEP_3)
	v_lshlrev_b64 v[9:10], v10, -1
	v_lshrrev_b64 v[12:13], v16, v[4:5]
	s_delay_alu instid0(VALU_DEP_3) | instskip(NEXT) | instid1(VALU_DEP_3)
	v_lshlrev_b64 v[14:15], v14, 1
	v_not_b32_e32 v5, v10
	s_delay_alu instid0(VALU_DEP_4) | instskip(NEXT) | instid1(VALU_DEP_4)
	v_not_b32_e32 v17, v9
	v_dual_mov_b32 v10, v3 :: v_dual_and_b32 v9, 0x100000, v12
	s_delay_alu instid0(VALU_DEP_3) | instskip(NEXT) | instid1(VALU_DEP_3)
	v_and_b32_e32 v5, 0, v5
	v_and_b32_e32 v4, v4, v17
	s_delay_alu instid0(VALU_DEP_3) | instskip(NEXT) | instid1(VALU_DEP_2)
	v_cmp_eq_u64_e64 s0, 0, v[9:10]
	v_cmp_eq_u64_e64 s1, v[4:5], v[14:15]
	v_cndmask_b32_e64 v4, v11, 0xffffff89, vcc_lo
	v_lshrrev_b32_e32 v5, 23, v12
	s_delay_alu instid0(VALU_DEP_3) | instskip(NEXT) | instid1(VALU_DEP_1)
	s_and_b32 vcc_lo, s0, s1
	v_add3_u32 v9, v4, v16, v5
	v_subrev_co_ci_u32_e32 v10, vcc_lo, 0, v12, vcc_lo
	s_mov_b32 s0, exec_lo
	s_delay_alu instid0(VALU_DEP_2) | instskip(NEXT) | instid1(VALU_DEP_2)
	v_add_nc_u32_e32 v11, -1, v9
	v_and_b32_e32 v4, 0xfffff, v10
                                        ; implicit-def: $vgpr10
	s_delay_alu instid0(VALU_DEP_1) | instskip(SKIP_1) | instid1(VALU_DEP_4)
	v_add_co_u32 v4, vcc_lo, v4, v12
	v_add_co_ci_u32_e32 v5, vcc_lo, 0, v13, vcc_lo
	v_cmpx_ne_u32_e32 0, v11
	s_xor_b32 s0, exec_lo, s0
; %bb.19:                               ;   in Loop: Header=BB14_15 Depth=1
	s_delay_alu instid0(VALU_DEP_3) | instskip(SKIP_1) | instid1(VALU_DEP_2)
	v_dual_mov_b32 v13, v3 :: v_dual_and_b32 v12, 0x1000000, v4
	v_bfe_u32 v10, v4, 24, 1
	v_cmp_eq_u64_e32 vcc_lo, 0, v[12:13]
	s_delay_alu instid0(VALU_DEP_2)
	v_lshrrev_b64 v[4:5], v10, v[4:5]
	v_cndmask_b32_e32 v10, v9, v11, vcc_lo
; %bb.20:                               ;   in Loop: Header=BB14_15 Depth=1
	s_and_not1_saveexec_b32 s0, s0
; %bb.21:                               ;   in Loop: Header=BB14_15 Depth=1
	s_delay_alu instid0(VALU_DEP_2)
	v_bfe_u32 v10, v4, 23, 1
; %bb.22:                               ;   in Loop: Header=BB14_15 Depth=1
	s_or_b32 exec_lo, exec_lo, s0
	s_delay_alu instid0(VALU_DEP_3) | instskip(NEXT) | instid1(VALU_DEP_2)
	v_lshrrev_b64 v[4:5], 20, v[4:5]
	v_cmp_gt_i32_e32 vcc_lo, 16, v10
	v_cmp_ne_u32_e64 s0, 0, v10
                                        ; implicit-def: $vgpr9
	s_delay_alu instid0(VALU_DEP_3) | instskip(NEXT) | instid1(VALU_DEP_1)
	v_dual_cndmask_b32 v5, 0, v5 :: v_dual_cndmask_b32 v4, 7, v4
	v_cmp_ne_u64_e32 vcc_lo, 0, v[4:5]
	s_delay_alu instid0(VALU_DEP_3) | instskip(NEXT) | instid1(SALU_CYCLE_1)
	s_or_b32 s0, s0, vcc_lo
	s_and_saveexec_b32 s1, s0
	s_delay_alu instid0(SALU_CYCLE_1)
	s_xor_b32 s0, exec_lo, s1
; %bb.23:                               ;   in Loop: Header=BB14_15 Depth=1
	v_min_i32_e32 v5, 15, v10
	s_delay_alu instid0(VALU_DEP_1) | instskip(NEXT) | instid1(VALU_DEP_1)
	v_lshl_or_b32 v1, v5, 3, v1
	v_and_or_b32 v9, v4, 7, v1
                                        ; implicit-def: $vgpr1
; %bb.24:                               ;   in Loop: Header=BB14_15 Depth=1
	s_and_not1_saveexec_b32 s0, s0
; %bb.25:                               ;   in Loop: Header=BB14_15 Depth=1
	v_mov_b32_e32 v9, v1
; %bb.26:                               ;   in Loop: Header=BB14_15 Depth=1
	s_or_b32 exec_lo, exec_lo, s0
.LBB14_27:                              ;   in Loop: Header=BB14_15 Depth=1
	s_delay_alu instid0(SALU_CYCLE_1)
	s_or_b32 exec_lo, exec_lo, s13
.LBB14_28:                              ;   in Loop: Header=BB14_15 Depth=1
	s_and_not1_saveexec_b32 s0, s12
	s_delay_alu instid0(SALU_CYCLE_1)
	s_or_b32 exec_lo, exec_lo, s0
                                        ; implicit-def: $vgpr11
                                        ; implicit-def: $vgpr4_vgpr5
.LBB14_29:                              ;   in Loop: Header=BB14_15 Depth=1
	s_and_not1_saveexec_b32 s0, s7
	s_cbranch_execz .LBB14_14
; %bb.30:                               ;   in Loop: Header=BB14_15 Depth=1
	v_cmp_eq_u64_e32 vcc_lo, 0, v[4:5]
	v_or_b32_e32 v1, 0x7f, v11
	s_delay_alu instid0(VALU_DEP_1)
	v_cndmask_b32_e32 v9, v1, v9, vcc_lo
	s_branch .LBB14_14
.LBB14_31:
	s_nop 0
	s_sendmsg sendmsg(MSG_DEALLOC_VGPRS)
	s_endpgm
	.section	.rodata,"a",@progbits
	.p2align	6, 0x0
	.amdhsa_kernel _ZN4vllm42fused_add_rms_norm_static_fp8_quant_kernelIN3c104HalfELi0ENS1_13Float8_e4m3fnEEENSt9enable_ifIXooeqT0_Li0Entsr12_typeConvertIT_EE6existsEvE4typeEPT1_PS5_iSA_PKS5_PKffii
		.amdhsa_group_segment_fixed_size 132
		.amdhsa_private_segment_fixed_size 0
		.amdhsa_kernarg_size 320
		.amdhsa_user_sgpr_count 15
		.amdhsa_user_sgpr_dispatch_ptr 0
		.amdhsa_user_sgpr_queue_ptr 0
		.amdhsa_user_sgpr_kernarg_segment_ptr 1
		.amdhsa_user_sgpr_dispatch_id 0
		.amdhsa_user_sgpr_private_segment_size 0
		.amdhsa_wavefront_size32 1
		.amdhsa_uses_dynamic_stack 0
		.amdhsa_enable_private_segment 0
		.amdhsa_system_sgpr_workgroup_id_x 1
		.amdhsa_system_sgpr_workgroup_id_y 0
		.amdhsa_system_sgpr_workgroup_id_z 0
		.amdhsa_system_sgpr_workgroup_info 0
		.amdhsa_system_vgpr_workitem_id 0
		.amdhsa_next_free_vgpr 18
		.amdhsa_next_free_sgpr 19
		.amdhsa_reserve_vcc 1
		.amdhsa_float_round_mode_32 0
		.amdhsa_float_round_mode_16_64 0
		.amdhsa_float_denorm_mode_32 3
		.amdhsa_float_denorm_mode_16_64 3
		.amdhsa_dx10_clamp 1
		.amdhsa_ieee_mode 1
		.amdhsa_fp16_overflow 0
		.amdhsa_workgroup_processor_mode 1
		.amdhsa_memory_ordered 1
		.amdhsa_forward_progress 0
		.amdhsa_shared_vgpr_count 0
		.amdhsa_exception_fp_ieee_invalid_op 0
		.amdhsa_exception_fp_denorm_src 0
		.amdhsa_exception_fp_ieee_div_zero 0
		.amdhsa_exception_fp_ieee_overflow 0
		.amdhsa_exception_fp_ieee_underflow 0
		.amdhsa_exception_fp_ieee_inexact 0
		.amdhsa_exception_int_div_zero 0
	.end_amdhsa_kernel
	.section	.text._ZN4vllm42fused_add_rms_norm_static_fp8_quant_kernelIN3c104HalfELi0ENS1_13Float8_e4m3fnEEENSt9enable_ifIXooeqT0_Li0Entsr12_typeConvertIT_EE6existsEvE4typeEPT1_PS5_iSA_PKS5_PKffii,"axG",@progbits,_ZN4vllm42fused_add_rms_norm_static_fp8_quant_kernelIN3c104HalfELi0ENS1_13Float8_e4m3fnEEENSt9enable_ifIXooeqT0_Li0Entsr12_typeConvertIT_EE6existsEvE4typeEPT1_PS5_iSA_PKS5_PKffii,comdat
.Lfunc_end14:
	.size	_ZN4vllm42fused_add_rms_norm_static_fp8_quant_kernelIN3c104HalfELi0ENS1_13Float8_e4m3fnEEENSt9enable_ifIXooeqT0_Li0Entsr12_typeConvertIT_EE6existsEvE4typeEPT1_PS5_iSA_PKS5_PKffii, .Lfunc_end14-_ZN4vllm42fused_add_rms_norm_static_fp8_quant_kernelIN3c104HalfELi0ENS1_13Float8_e4m3fnEEENSt9enable_ifIXooeqT0_Li0Entsr12_typeConvertIT_EE6existsEvE4typeEPT1_PS5_iSA_PKS5_PKffii
                                        ; -- End function
	.section	.AMDGPU.csdata,"",@progbits
; Kernel info:
; codeLenInByte = 1976
; NumSgprs: 21
; NumVgprs: 18
; ScratchSize: 0
; MemoryBound: 0
; FloatMode: 240
; IeeeMode: 1
; LDSByteSize: 132 bytes/workgroup (compile time only)
; SGPRBlocks: 2
; VGPRBlocks: 2
; NumSGPRsForWavesPerEU: 21
; NumVGPRsForWavesPerEU: 18
; Occupancy: 16
; WaveLimiterHint : 0
; COMPUTE_PGM_RSRC2:SCRATCH_EN: 0
; COMPUTE_PGM_RSRC2:USER_SGPR: 15
; COMPUTE_PGM_RSRC2:TRAP_HANDLER: 0
; COMPUTE_PGM_RSRC2:TGID_X_EN: 1
; COMPUTE_PGM_RSRC2:TGID_Y_EN: 0
; COMPUTE_PGM_RSRC2:TGID_Z_EN: 0
; COMPUTE_PGM_RSRC2:TIDIG_COMP_CNT: 0
	.section	.text._ZN4vllm42fused_add_rms_norm_static_fp8_quant_kernelIN3c104HalfELi0ENS1_15Float8_e4m3fnuzEEENSt9enable_ifIXooeqT0_Li0Entsr12_typeConvertIT_EE6existsEvE4typeEPT1_PS5_iSA_PKS5_PKffii,"axG",@progbits,_ZN4vllm42fused_add_rms_norm_static_fp8_quant_kernelIN3c104HalfELi0ENS1_15Float8_e4m3fnuzEEENSt9enable_ifIXooeqT0_Li0Entsr12_typeConvertIT_EE6existsEvE4typeEPT1_PS5_iSA_PKS5_PKffii,comdat
	.protected	_ZN4vllm42fused_add_rms_norm_static_fp8_quant_kernelIN3c104HalfELi0ENS1_15Float8_e4m3fnuzEEENSt9enable_ifIXooeqT0_Li0Entsr12_typeConvertIT_EE6existsEvE4typeEPT1_PS5_iSA_PKS5_PKffii ; -- Begin function _ZN4vllm42fused_add_rms_norm_static_fp8_quant_kernelIN3c104HalfELi0ENS1_15Float8_e4m3fnuzEEENSt9enable_ifIXooeqT0_Li0Entsr12_typeConvertIT_EE6existsEvE4typeEPT1_PS5_iSA_PKS5_PKffii
	.globl	_ZN4vllm42fused_add_rms_norm_static_fp8_quant_kernelIN3c104HalfELi0ENS1_15Float8_e4m3fnuzEEENSt9enable_ifIXooeqT0_Li0Entsr12_typeConvertIT_EE6existsEvE4typeEPT1_PS5_iSA_PKS5_PKffii
	.p2align	8
	.type	_ZN4vllm42fused_add_rms_norm_static_fp8_quant_kernelIN3c104HalfELi0ENS1_15Float8_e4m3fnuzEEENSt9enable_ifIXooeqT0_Li0Entsr12_typeConvertIT_EE6existsEvE4typeEPT1_PS5_iSA_PKS5_PKffii,@function
_ZN4vllm42fused_add_rms_norm_static_fp8_quant_kernelIN3c104HalfELi0ENS1_15Float8_e4m3fnuzEEENSt9enable_ifIXooeqT0_Li0Entsr12_typeConvertIT_EE6existsEvE4typeEPT1_PS5_iSA_PKS5_PKffii: ; @_ZN4vllm42fused_add_rms_norm_static_fp8_quant_kernelIN3c104HalfELi0ENS1_15Float8_e4m3fnuzEEENSt9enable_ifIXooeqT0_Li0Entsr12_typeConvertIT_EE6existsEvE4typeEPT1_PS5_iSA_PKS5_PKffii
; %bb.0:
	s_clause 0x1
	s_load_b32 s3, s[0:1], 0x38
	s_load_b64 s[8:9], s[0:1], 0x18
	s_mov_b32 s4, exec_lo
                                        ; implicit-def: $sgpr13
                                        ; implicit-def: $sgpr12
	s_waitcnt lgkmcnt(0)
	v_cmp_gt_i32_e64 s2, s3, v0
	v_cmpx_le_i32_e64 s3, v0
	s_xor_b32 s4, exec_lo, s4
	s_cbranch_execz .LBB15_2
; %bb.1:
	s_load_b32 s5, s[0:1], 0x4c
	s_mov_b32 s13, 0
	s_waitcnt lgkmcnt(0)
	s_and_b32 s12, s5, 0xffff
.LBB15_2:
	s_or_saveexec_b32 s16, s4
	s_clause 0x1
	s_load_b64 s[10:11], s[0:1], 0x0
	s_load_b128 s[4:7], s[0:1], 0x20
	v_dual_mov_b32 v3, s13 :: v_dual_mov_b32 v6, s12
	s_mul_i32 s14, s15, s3
	s_xor_b32 exec_lo, exec_lo, s16
	s_cbranch_execz .LBB15_6
; %bb.3:
	s_clause 0x2
	s_load_b32 s17, s[0:1], 0x10
	s_load_b32 s18, s[0:1], 0x4c
	s_load_b64 s[12:13], s[0:1], 0x8
	v_dual_mov_b32 v2, 0 :: v_dual_mov_b32 v3, 0
	v_mov_b32_e32 v4, v0
	s_waitcnt lgkmcnt(0)
	s_mul_i32 s17, s15, s17
	s_and_b32 s15, s18, 0xffff
	s_mov_b32 s18, 0
	.p2align	6
.LBB15_4:                               ; =>This Inner Loop Header: Depth=1
	v_add_nc_u32_e32 v1, s17, v4
	s_delay_alu instid0(VALU_DEP_1) | instskip(SKIP_2) | instid1(VALU_DEP_2)
	v_lshlrev_b64 v[5:6], 1, v[1:2]
	v_add_nc_u32_e32 v1, s14, v4
	v_add_nc_u32_e32 v4, s15, v4
	v_lshlrev_b64 v[7:8], 1, v[1:2]
	s_delay_alu instid0(VALU_DEP_4) | instskip(SKIP_1) | instid1(VALU_DEP_3)
	v_add_co_u32 v5, vcc_lo, s12, v5
	v_add_co_ci_u32_e32 v6, vcc_lo, s13, v6, vcc_lo
	v_add_co_u32 v7, vcc_lo, s8, v7
	s_delay_alu instid0(VALU_DEP_4)
	v_add_co_ci_u32_e32 v8, vcc_lo, s9, v8, vcc_lo
	v_cmp_le_i32_e32 vcc_lo, s3, v4
	global_load_u16 v1, v[5:6], off
	global_load_u16 v5, v[7:8], off
	s_or_b32 s18, vcc_lo, s18
	s_waitcnt vmcnt(0)
	v_add_f16_e32 v1, v1, v5
	s_delay_alu instid0(VALU_DEP_1)
	v_fma_mix_f32 v3, v1, v1, v3 op_sel_hi:[1,1,0]
	global_store_b16 v[7:8], v1, off
	s_and_not1_b32 exec_lo, exec_lo, s18
	s_cbranch_execnz .LBB15_4
; %bb.5:
	s_or_b32 exec_lo, exec_lo, s18
	v_mov_b32_e32 v6, s15
.LBB15_6:
	s_or_b32 exec_lo, exec_lo, s16
	v_mbcnt_lo_u32_b32 v1, -1, 0
	v_and_b32_e32 v4, 0x3e0, v0
	s_mov_b32 s12, exec_lo
	s_delay_alu instid0(VALU_DEP_2) | instskip(NEXT) | instid1(VALU_DEP_2)
	v_cmp_ne_u32_e32 vcc_lo, 31, v1
	v_sub_nc_u32_e64 v13, v6, v4 clamp
	v_add_nc_u32_e32 v4, 1, v1
	v_add_co_ci_u32_e32 v2, vcc_lo, 0, v1, vcc_lo
	v_cmp_gt_u32_e32 vcc_lo, 30, v1
	s_delay_alu instid0(VALU_DEP_2)
	v_lshlrev_b32_e32 v2, 2, v2
	v_cndmask_b32_e64 v7, 0, 1, vcc_lo
	v_cmp_lt_u32_e32 vcc_lo, v4, v13
	ds_bpermute_b32 v5, v2, v3
	s_waitcnt lgkmcnt(0)
	v_dual_add_f32 v8, v3, v5 :: v_dual_lshlrev_b32 v7, 1, v7
	s_delay_alu instid0(VALU_DEP_1) | instskip(NEXT) | instid1(VALU_DEP_2)
	v_add_lshl_u32 v5, v7, v1, 2
	v_cndmask_b32_e32 v8, v3, v8, vcc_lo
	v_cmp_gt_u32_e32 vcc_lo, 28, v1
	v_cndmask_b32_e64 v3, 0, 1, vcc_lo
	s_delay_alu instid0(VALU_DEP_1) | instskip(SKIP_3) | instid1(VALU_DEP_1)
	v_lshlrev_b32_e32 v9, 2, v3
	ds_bpermute_b32 v7, v5, v8
	s_waitcnt lgkmcnt(0)
	v_dual_add_f32 v10, v8, v7 :: v_dual_add_nc_u32 v3, 2, v1
	v_cmp_lt_u32_e32 vcc_lo, v3, v13
	v_add_lshl_u32 v7, v9, v1, 2
	s_delay_alu instid0(VALU_DEP_3) | instskip(SKIP_2) | instid1(VALU_DEP_1)
	v_cndmask_b32_e32 v10, v8, v10, vcc_lo
	v_cmp_gt_u32_e32 vcc_lo, 24, v1
	v_cndmask_b32_e64 v8, 0, 1, vcc_lo
	v_lshlrev_b32_e32 v11, 3, v8
	ds_bpermute_b32 v9, v7, v10
	v_add_nc_u32_e32 v8, 4, v1
	s_delay_alu instid0(VALU_DEP_1) | instskip(SKIP_3) | instid1(VALU_DEP_2)
	v_cmp_lt_u32_e32 vcc_lo, v8, v13
	s_waitcnt lgkmcnt(0)
	v_add_f32_e32 v12, v10, v9
	v_add_lshl_u32 v9, v11, v1, 2
	v_cndmask_b32_e32 v12, v10, v12, vcc_lo
	v_cmp_gt_u32_e32 vcc_lo, 16, v1
	ds_bpermute_b32 v11, v9, v12
	v_cndmask_b32_e64 v10, 0, 1, vcc_lo
	s_delay_alu instid0(VALU_DEP_1) | instskip(SKIP_1) | instid1(VALU_DEP_1)
	v_lshlrev_b32_e32 v14, 4, v10
	v_add_nc_u32_e32 v10, 8, v1
	v_cmp_lt_u32_e32 vcc_lo, v10, v13
	s_waitcnt lgkmcnt(0)
	v_add_f32_e32 v15, v12, v11
	v_add_lshl_u32 v11, v14, v1, 2
	s_delay_alu instid0(VALU_DEP_2)
	v_cndmask_b32_e32 v14, v12, v15, vcc_lo
	v_add_nc_u32_e32 v12, 16, v1
	ds_bpermute_b32 v15, v11, v14
	v_cmp_lt_u32_e32 vcc_lo, v12, v13
	s_waitcnt lgkmcnt(0)
	v_add_f32_e32 v15, v14, v15
	s_delay_alu instid0(VALU_DEP_1)
	v_cndmask_b32_e32 v13, v14, v15, vcc_lo
	v_cmpx_eq_u32_e32 0, v1
	s_cbranch_execz .LBB15_8
; %bb.7:
	v_lshrrev_b32_e32 v14, 3, v0
	s_delay_alu instid0(VALU_DEP_1)
	v_and_b32_e32 v14, 0x7c, v14
	ds_store_b32 v14, v13
.LBB15_8:
	s_or_b32 exec_lo, exec_lo, s12
	s_delay_alu instid0(SALU_CYCLE_1)
	s_mov_b32 s12, exec_lo
	s_waitcnt lgkmcnt(0)
	s_waitcnt_vscnt null, 0x0
	s_barrier
	buffer_gl0_inv
	v_cmpx_gt_u32_e32 32, v0
	s_cbranch_execz .LBB15_10
; %bb.9:
	v_lshlrev_b32_e32 v1, 2, v1
	v_add_nc_u32_e32 v13, 31, v6
	ds_load_b32 v1, v1
	v_lshrrev_b32_e32 v13, 5, v13
	s_delay_alu instid0(VALU_DEP_1) | instskip(SKIP_4) | instid1(VALU_DEP_1)
	v_cmp_lt_u32_e32 vcc_lo, v4, v13
	s_waitcnt lgkmcnt(0)
	ds_bpermute_b32 v2, v2, v1
	s_waitcnt lgkmcnt(0)
	v_add_f32_e32 v2, v1, v2
	v_cndmask_b32_e32 v1, v1, v2, vcc_lo
	v_cmp_lt_u32_e32 vcc_lo, v3, v13
	ds_bpermute_b32 v2, v5, v1
	s_waitcnt lgkmcnt(0)
	v_add_f32_e32 v2, v1, v2
	s_delay_alu instid0(VALU_DEP_1) | instskip(SKIP_4) | instid1(VALU_DEP_1)
	v_cndmask_b32_e32 v1, v1, v2, vcc_lo
	v_cmp_lt_u32_e32 vcc_lo, v8, v13
	ds_bpermute_b32 v2, v7, v1
	s_waitcnt lgkmcnt(0)
	v_add_f32_e32 v2, v1, v2
	v_cndmask_b32_e32 v1, v1, v2, vcc_lo
	v_cmp_lt_u32_e32 vcc_lo, v10, v13
	ds_bpermute_b32 v2, v9, v1
	s_waitcnt lgkmcnt(0)
	v_add_f32_e32 v2, v1, v2
	s_delay_alu instid0(VALU_DEP_1) | instskip(SKIP_4) | instid1(VALU_DEP_1)
	v_cndmask_b32_e32 v1, v1, v2, vcc_lo
	v_cmp_lt_u32_e32 vcc_lo, v12, v13
	ds_bpermute_b32 v2, v11, v1
	s_waitcnt lgkmcnt(0)
	v_add_f32_e32 v2, v1, v2
	v_cndmask_b32_e32 v13, v1, v2, vcc_lo
.LBB15_10:
	s_or_b32 exec_lo, exec_lo, s12
	s_delay_alu instid0(SALU_CYCLE_1)
	s_mov_b32 s12, exec_lo
	v_cmpx_eq_u32_e32 0, v0
	s_cbranch_execz .LBB15_12
; %bb.11:
	v_cvt_f32_i32_e32 v1, s3
	s_load_b32 s0, s[0:1], 0x30
	s_delay_alu instid0(VALU_DEP_1) | instskip(SKIP_1) | instid1(VALU_DEP_2)
	v_div_scale_f32 v2, null, v1, v1, v13
	v_div_scale_f32 v5, vcc_lo, v13, v1, v13
	v_rcp_f32_e32 v3, v2
	s_waitcnt_depctr 0xfff
	v_fma_f32 v4, -v2, v3, 1.0
	s_delay_alu instid0(VALU_DEP_1) | instskip(NEXT) | instid1(VALU_DEP_1)
	v_fmac_f32_e32 v3, v4, v3
	v_mul_f32_e32 v4, v5, v3
	s_delay_alu instid0(VALU_DEP_1) | instskip(NEXT) | instid1(VALU_DEP_1)
	v_fma_f32 v7, -v2, v4, v5
	v_fmac_f32_e32 v4, v7, v3
	s_delay_alu instid0(VALU_DEP_1) | instskip(NEXT) | instid1(VALU_DEP_1)
	v_fma_f32 v2, -v2, v4, v5
	v_div_fmas_f32 v2, v2, v3, v4
	s_delay_alu instid0(VALU_DEP_1) | instskip(SKIP_1) | instid1(VALU_DEP_1)
	v_div_fixup_f32 v1, v2, v1, v13
	s_waitcnt lgkmcnt(0)
	v_add_f32_e32 v1, s0, v1
	s_delay_alu instid0(VALU_DEP_1) | instskip(SKIP_1) | instid1(VALU_DEP_2)
	v_mul_f32_e32 v2, 0x4b800000, v1
	v_cmp_gt_f32_e32 vcc_lo, 0x800000, v1
	v_cndmask_b32_e32 v1, v1, v2, vcc_lo
	s_delay_alu instid0(VALU_DEP_1) | instskip(SKIP_2) | instid1(VALU_DEP_1)
	v_rsq_f32_e32 v1, v1
	s_waitcnt_depctr 0xfff
	v_mul_f32_e32 v2, 0x45800000, v1
	v_dual_cndmask_b32 v1, v1, v2 :: v_dual_mov_b32 v2, 0
	ds_store_b32 v2, v1 offset:128
.LBB15_12:
	s_or_b32 exec_lo, exec_lo, s12
	s_waitcnt lgkmcnt(0)
	s_barrier
	buffer_gl0_inv
	s_and_saveexec_b32 s0, s2
	s_cbranch_execz .LBB15_25
; %bb.13:
	s_load_b32 s0, s[6:7], 0x0
	s_mov_b32 s2, 0
	s_mov_b32 s6, 0x43600000
	s_waitcnt lgkmcnt(0)
	v_div_scale_f32 v1, null, s0, s0, 1.0
	v_div_scale_f32 v4, vcc_lo, 1.0, s0, 1.0
	s_delay_alu instid0(VALU_DEP_2) | instskip(SKIP_2) | instid1(VALU_DEP_1)
	v_rcp_f32_e32 v2, v1
	s_waitcnt_depctr 0xfff
	v_fma_f32 v3, -v1, v2, 1.0
	v_dual_fmac_f32 v2, v3, v2 :: v_dual_mov_b32 v3, 0
	s_delay_alu instid0(VALU_DEP_1) | instskip(NEXT) | instid1(VALU_DEP_1)
	v_mul_f32_e32 v5, v4, v2
	v_fma_f32 v7, -v1, v5, v4
	s_delay_alu instid0(VALU_DEP_1) | instskip(SKIP_2) | instid1(VALU_DEP_1)
	v_fmac_f32_e32 v5, v7, v2
	ds_load_b32 v7, v3 offset:128
	v_fma_f32 v1, -v1, v5, v4
	v_div_fmas_f32 v1, v1, v2, v5
	s_delay_alu instid0(VALU_DEP_1)
	v_div_fixup_f32 v8, v1, s0, 1.0
	s_branch .LBB15_18
.LBB15_14:                              ;   in Loop: Header=BB15_18 Depth=1
	s_or_b32 exec_lo, exec_lo, s0
	s_delay_alu instid0(VALU_DEP_2) | instskip(NEXT) | instid1(VALU_DEP_2)
	v_lshrrev_b64 v[4:5], 20, v[4:5]
	v_cmp_gt_i32_e32 vcc_lo, 16, v9
	v_and_b32_e32 v1, 0x80, v1
	v_min_i32_e32 v10, 15, v9
	v_cmp_eq_u32_e64 s0, 0, v9
	v_dual_cndmask_b32 v4, 7, v4 :: v_dual_cndmask_b32 v5, 0, v5
	s_delay_alu instid0(VALU_DEP_3) | instskip(NEXT) | instid1(VALU_DEP_2)
	v_lshl_or_b32 v1, v10, 3, v1
	v_cmp_eq_u64_e32 vcc_lo, 0, v[4:5]
	s_delay_alu instid0(VALU_DEP_2)
	v_and_or_b32 v1, v4, 7, v1
	s_and_b32 s0, s0, vcc_lo
	s_delay_alu instid0(VALU_DEP_1) | instid1(SALU_CYCLE_1)
	v_cndmask_b32_e64 v4, v1, 0, s0
.LBB15_15:                              ;   in Loop: Header=BB15_18 Depth=1
	s_or_b32 exec_lo, exec_lo, s13
.LBB15_16:                              ;   in Loop: Header=BB15_18 Depth=1
	s_and_not1_saveexec_b32 s0, s12
	s_delay_alu instid0(SALU_CYCLE_1)
	s_or_b32 exec_lo, exec_lo, s0
.LBB15_17:                              ;   in Loop: Header=BB15_18 Depth=1
	s_and_not1_saveexec_b32 s0, s7
	s_delay_alu instid0(SALU_CYCLE_1) | instskip(SKIP_2) | instid1(VALU_DEP_1)
	s_or_b32 exec_lo, exec_lo, s0
	v_add_nc_u32_e32 v0, v0, v6
	v_add_co_u32 v1, s0, s10, v2
	v_add_co_ci_u32_e64 v2, null, s11, 0, s0
	s_delay_alu instid0(VALU_DEP_3) | instskip(SKIP_2) | instid1(SALU_CYCLE_1)
	v_cmp_le_i32_e32 vcc_lo, s3, v0
	global_store_b8 v[1:2], v4, off
	s_or_b32 s2, vcc_lo, s2
	s_and_not1_b32 exec_lo, exec_lo, s2
	s_cbranch_execz .LBB15_25
.LBB15_18:                              ; =>This Inner Loop Header: Depth=1
	v_add_nc_u32_e32 v2, s14, v0
	v_ashrrev_i32_e32 v1, 31, v0
	s_mov_b32 s0, exec_lo
	s_delay_alu instid0(VALU_DEP_2) | instskip(NEXT) | instid1(VALU_DEP_2)
	v_lshlrev_b64 v[4:5], 1, v[2:3]
	v_lshlrev_b64 v[9:10], 1, v[0:1]
	s_delay_alu instid0(VALU_DEP_2) | instskip(NEXT) | instid1(VALU_DEP_3)
	v_add_co_u32 v4, vcc_lo, s8, v4
	v_add_co_ci_u32_e32 v5, vcc_lo, s9, v5, vcc_lo
	s_delay_alu instid0(VALU_DEP_3) | instskip(NEXT) | instid1(VALU_DEP_4)
	v_add_co_u32 v9, vcc_lo, s4, v9
	v_add_co_ci_u32_e32 v10, vcc_lo, s5, v10, vcc_lo
	global_load_u16 v1, v[4:5], off
	global_load_u16 v4, v[9:10], off
	v_mov_b32_e32 v10, v3
	s_waitcnt vmcnt(1) lgkmcnt(0)
	v_fma_mixlo_f16 v1, v7, v1, 0 op_sel_hi:[0,1,0]
	s_waitcnt vmcnt(0)
	s_delay_alu instid0(VALU_DEP_1) | instskip(NEXT) | instid1(VALU_DEP_1)
	v_mul_f16_e32 v1, v4, v1
	v_cvt_f32_f16_e32 v1, v1
	s_delay_alu instid0(VALU_DEP_1) | instskip(NEXT) | instid1(VALU_DEP_1)
	v_mul_f32_e32 v1, v8, v1
	v_minmax_f32 v5, v1, s6, 0xc3600000
	s_delay_alu instid0(VALU_DEP_1) | instskip(SKIP_1) | instid1(VALU_DEP_2)
	v_lshrrev_b32_e32 v1, 24, v5
	v_and_b32_e32 v9, 0x7f800000, v5
	v_or_b32_e32 v4, 0x7f, v1
	s_delay_alu instid0(VALU_DEP_2)
	v_cmpx_ne_u64_e32 0x7f800000, v[9:10]
	s_xor_b32 s7, exec_lo, s0
	s_cbranch_execz .LBB15_17
; %bb.19:                               ;   in Loop: Header=BB15_18 Depth=1
	v_dual_mov_b32 v10, v3 :: v_dual_and_b32 v9, 0x7fffffff, v5
	s_mov_b32 s0, exec_lo
	s_delay_alu instid0(VALU_DEP_1)
	v_cmpx_gt_u64_e32 0x43700001, v[9:10]
	s_xor_b32 s12, exec_lo, s0
	s_cbranch_execz .LBB15_16
; %bb.20:                               ;   in Loop: Header=BB15_18 Depth=1
	v_mov_b32_e32 v4, 0
	s_mov_b32 s13, exec_lo
	v_cmpx_ne_u32_e32 0, v5
	s_cbranch_execz .LBB15_15
; %bb.21:                               ;   in Loop: Header=BB15_18 Depth=1
	v_bfe_u32 v11, v5, 23, 8
	v_and_b32_e32 v9, 0x7fffff, v5
	v_mov_b32_e32 v5, v3
	s_delay_alu instid0(VALU_DEP_3) | instskip(SKIP_2) | instid1(VALU_DEP_3)
	v_sub_nc_u32_e64 v4, 0x78, v11 clamp
	v_cmp_eq_u32_e32 vcc_lo, 0, v11
	v_add_nc_u32_e32 v11, 0xffffff89, v11
	v_cndmask_b32_e64 v16, v4, 0x77, vcc_lo
	v_or_b32_e32 v4, 0x800000, v9
	s_delay_alu instid0(VALU_DEP_2) | instskip(NEXT) | instid1(VALU_DEP_2)
	v_add_nc_u32_e32 v10, 20, v16
	v_cndmask_b32_e32 v4, v4, v9, vcc_lo
	v_add_nc_u32_e32 v14, 19, v16
	s_delay_alu instid0(VALU_DEP_3) | instskip(NEXT) | instid1(VALU_DEP_3)
	v_lshlrev_b64 v[9:10], v10, -1
	v_lshrrev_b64 v[12:13], v16, v[4:5]
	s_delay_alu instid0(VALU_DEP_3) | instskip(SKIP_1) | instid1(VALU_DEP_4)
	v_lshlrev_b64 v[14:15], v14, 1
	v_mov_b32_e32 v10, v3
	v_not_b32_e32 v17, v9
	s_delay_alu instid0(VALU_DEP_4) | instskip(NEXT) | instid1(VALU_DEP_2)
	v_and_b32_e32 v9, 0x100000, v12
	v_and_b32_e32 v4, v4, v17
	s_delay_alu instid0(VALU_DEP_2) | instskip(NEXT) | instid1(VALU_DEP_2)
	v_cmp_eq_u64_e64 s0, 0, v[9:10]
	v_cmp_eq_u64_e64 s1, v[4:5], v[14:15]
	v_cndmask_b32_e64 v4, v11, 0xffffff8a, vcc_lo
	v_lshrrev_b32_e32 v5, 23, v12
	s_delay_alu instid0(VALU_DEP_3) | instskip(NEXT) | instid1(VALU_DEP_1)
	s_and_b32 vcc_lo, s0, s1
	v_add3_u32 v10, v4, v16, v5
	v_subrev_co_ci_u32_e32 v9, vcc_lo, 0, v12, vcc_lo
	s_mov_b32 s0, exec_lo
	s_delay_alu instid0(VALU_DEP_2) | instskip(NEXT) | instid1(VALU_DEP_2)
	v_add_nc_u32_e32 v11, -1, v10
	v_and_b32_e32 v4, 0xfffff, v9
                                        ; implicit-def: $vgpr9
	s_delay_alu instid0(VALU_DEP_1) | instskip(SKIP_1) | instid1(VALU_DEP_4)
	v_add_co_u32 v4, vcc_lo, v4, v12
	v_add_co_ci_u32_e32 v5, vcc_lo, 0, v13, vcc_lo
	v_cmpx_ne_u32_e32 0, v11
	s_xor_b32 s0, exec_lo, s0
; %bb.22:                               ;   in Loop: Header=BB15_18 Depth=1
	s_delay_alu instid0(VALU_DEP_3) | instskip(SKIP_1) | instid1(VALU_DEP_2)
	v_dual_mov_b32 v13, v3 :: v_dual_and_b32 v12, 0x1000000, v4
	v_bfe_u32 v9, v4, 24, 1
	v_cmp_eq_u64_e32 vcc_lo, 0, v[12:13]
	s_delay_alu instid0(VALU_DEP_2)
	v_lshrrev_b64 v[4:5], v9, v[4:5]
	v_cndmask_b32_e32 v9, v10, v11, vcc_lo
; %bb.23:                               ;   in Loop: Header=BB15_18 Depth=1
	s_and_not1_saveexec_b32 s0, s0
	s_cbranch_execz .LBB15_14
; %bb.24:                               ;   in Loop: Header=BB15_18 Depth=1
	s_delay_alu instid0(VALU_DEP_2)
	v_bfe_u32 v9, v4, 23, 1
	s_branch .LBB15_14
.LBB15_25:
	s_nop 0
	s_sendmsg sendmsg(MSG_DEALLOC_VGPRS)
	s_endpgm
	.section	.rodata,"a",@progbits
	.p2align	6, 0x0
	.amdhsa_kernel _ZN4vllm42fused_add_rms_norm_static_fp8_quant_kernelIN3c104HalfELi0ENS1_15Float8_e4m3fnuzEEENSt9enable_ifIXooeqT0_Li0Entsr12_typeConvertIT_EE6existsEvE4typeEPT1_PS5_iSA_PKS5_PKffii
		.amdhsa_group_segment_fixed_size 132
		.amdhsa_private_segment_fixed_size 0
		.amdhsa_kernarg_size 320
		.amdhsa_user_sgpr_count 15
		.amdhsa_user_sgpr_dispatch_ptr 0
		.amdhsa_user_sgpr_queue_ptr 0
		.amdhsa_user_sgpr_kernarg_segment_ptr 1
		.amdhsa_user_sgpr_dispatch_id 0
		.amdhsa_user_sgpr_private_segment_size 0
		.amdhsa_wavefront_size32 1
		.amdhsa_uses_dynamic_stack 0
		.amdhsa_enable_private_segment 0
		.amdhsa_system_sgpr_workgroup_id_x 1
		.amdhsa_system_sgpr_workgroup_id_y 0
		.amdhsa_system_sgpr_workgroup_id_z 0
		.amdhsa_system_sgpr_workgroup_info 0
		.amdhsa_system_vgpr_workitem_id 0
		.amdhsa_next_free_vgpr 18
		.amdhsa_next_free_sgpr 19
		.amdhsa_reserve_vcc 1
		.amdhsa_float_round_mode_32 0
		.amdhsa_float_round_mode_16_64 0
		.amdhsa_float_denorm_mode_32 3
		.amdhsa_float_denorm_mode_16_64 3
		.amdhsa_dx10_clamp 1
		.amdhsa_ieee_mode 1
		.amdhsa_fp16_overflow 0
		.amdhsa_workgroup_processor_mode 1
		.amdhsa_memory_ordered 1
		.amdhsa_forward_progress 0
		.amdhsa_shared_vgpr_count 0
		.amdhsa_exception_fp_ieee_invalid_op 0
		.amdhsa_exception_fp_denorm_src 0
		.amdhsa_exception_fp_ieee_div_zero 0
		.amdhsa_exception_fp_ieee_overflow 0
		.amdhsa_exception_fp_ieee_underflow 0
		.amdhsa_exception_fp_ieee_inexact 0
		.amdhsa_exception_int_div_zero 0
	.end_amdhsa_kernel
	.section	.text._ZN4vllm42fused_add_rms_norm_static_fp8_quant_kernelIN3c104HalfELi0ENS1_15Float8_e4m3fnuzEEENSt9enable_ifIXooeqT0_Li0Entsr12_typeConvertIT_EE6existsEvE4typeEPT1_PS5_iSA_PKS5_PKffii,"axG",@progbits,_ZN4vllm42fused_add_rms_norm_static_fp8_quant_kernelIN3c104HalfELi0ENS1_15Float8_e4m3fnuzEEENSt9enable_ifIXooeqT0_Li0Entsr12_typeConvertIT_EE6existsEvE4typeEPT1_PS5_iSA_PKS5_PKffii,comdat
.Lfunc_end15:
	.size	_ZN4vllm42fused_add_rms_norm_static_fp8_quant_kernelIN3c104HalfELi0ENS1_15Float8_e4m3fnuzEEENSt9enable_ifIXooeqT0_Li0Entsr12_typeConvertIT_EE6existsEvE4typeEPT1_PS5_iSA_PKS5_PKffii, .Lfunc_end15-_ZN4vllm42fused_add_rms_norm_static_fp8_quant_kernelIN3c104HalfELi0ENS1_15Float8_e4m3fnuzEEENSt9enable_ifIXooeqT0_Li0Entsr12_typeConvertIT_EE6existsEvE4typeEPT1_PS5_iSA_PKS5_PKffii
                                        ; -- End function
	.section	.AMDGPU.csdata,"",@progbits
; Kernel info:
; codeLenInByte = 1928
; NumSgprs: 21
; NumVgprs: 18
; ScratchSize: 0
; MemoryBound: 0
; FloatMode: 240
; IeeeMode: 1
; LDSByteSize: 132 bytes/workgroup (compile time only)
; SGPRBlocks: 2
; VGPRBlocks: 2
; NumSGPRsForWavesPerEU: 21
; NumVGPRsForWavesPerEU: 18
; Occupancy: 16
; WaveLimiterHint : 0
; COMPUTE_PGM_RSRC2:SCRATCH_EN: 0
; COMPUTE_PGM_RSRC2:USER_SGPR: 15
; COMPUTE_PGM_RSRC2:TRAP_HANDLER: 0
; COMPUTE_PGM_RSRC2:TGID_X_EN: 1
; COMPUTE_PGM_RSRC2:TGID_Y_EN: 0
; COMPUTE_PGM_RSRC2:TGID_Z_EN: 0
; COMPUTE_PGM_RSRC2:TIDIG_COMP_CNT: 0
	.section	.text._ZN4vllm42fused_add_rms_norm_static_fp8_quant_kernelIN3c108BFloat16ELi0ENS1_13Float8_e4m3fnEEENSt9enable_ifIXooeqT0_Li0Entsr12_typeConvertIT_EE6existsEvE4typeEPT1_PS5_iSA_PKS5_PKffii,"axG",@progbits,_ZN4vllm42fused_add_rms_norm_static_fp8_quant_kernelIN3c108BFloat16ELi0ENS1_13Float8_e4m3fnEEENSt9enable_ifIXooeqT0_Li0Entsr12_typeConvertIT_EE6existsEvE4typeEPT1_PS5_iSA_PKS5_PKffii,comdat
	.protected	_ZN4vllm42fused_add_rms_norm_static_fp8_quant_kernelIN3c108BFloat16ELi0ENS1_13Float8_e4m3fnEEENSt9enable_ifIXooeqT0_Li0Entsr12_typeConvertIT_EE6existsEvE4typeEPT1_PS5_iSA_PKS5_PKffii ; -- Begin function _ZN4vllm42fused_add_rms_norm_static_fp8_quant_kernelIN3c108BFloat16ELi0ENS1_13Float8_e4m3fnEEENSt9enable_ifIXooeqT0_Li0Entsr12_typeConvertIT_EE6existsEvE4typeEPT1_PS5_iSA_PKS5_PKffii
	.globl	_ZN4vllm42fused_add_rms_norm_static_fp8_quant_kernelIN3c108BFloat16ELi0ENS1_13Float8_e4m3fnEEENSt9enable_ifIXooeqT0_Li0Entsr12_typeConvertIT_EE6existsEvE4typeEPT1_PS5_iSA_PKS5_PKffii
	.p2align	8
	.type	_ZN4vllm42fused_add_rms_norm_static_fp8_quant_kernelIN3c108BFloat16ELi0ENS1_13Float8_e4m3fnEEENSt9enable_ifIXooeqT0_Li0Entsr12_typeConvertIT_EE6existsEvE4typeEPT1_PS5_iSA_PKS5_PKffii,@function
_ZN4vllm42fused_add_rms_norm_static_fp8_quant_kernelIN3c108BFloat16ELi0ENS1_13Float8_e4m3fnEEENSt9enable_ifIXooeqT0_Li0Entsr12_typeConvertIT_EE6existsEvE4typeEPT1_PS5_iSA_PKS5_PKffii: ; @_ZN4vllm42fused_add_rms_norm_static_fp8_quant_kernelIN3c108BFloat16ELi0ENS1_13Float8_e4m3fnEEENSt9enable_ifIXooeqT0_Li0Entsr12_typeConvertIT_EE6existsEvE4typeEPT1_PS5_iSA_PKS5_PKffii
; %bb.0:
	s_clause 0x1
	s_load_b32 s3, s[0:1], 0x38
	s_load_b64 s[8:9], s[0:1], 0x18
	s_mov_b32 s4, exec_lo
                                        ; implicit-def: $sgpr13
                                        ; implicit-def: $sgpr12
	s_waitcnt lgkmcnt(0)
	v_cmp_gt_i32_e64 s2, s3, v0
	v_cmpx_le_i32_e64 s3, v0
	s_xor_b32 s4, exec_lo, s4
	s_cbranch_execz .LBB16_2
; %bb.1:
	s_load_b32 s5, s[0:1], 0x4c
	s_mov_b32 s13, 0
	s_waitcnt lgkmcnt(0)
	s_and_b32 s12, s5, 0xffff
.LBB16_2:
	s_or_saveexec_b32 s16, s4
	s_clause 0x1
	s_load_b64 s[10:11], s[0:1], 0x0
	s_load_b128 s[4:7], s[0:1], 0x20
	v_dual_mov_b32 v3, s13 :: v_dual_mov_b32 v6, s12
	s_mul_i32 s14, s15, s3
	s_xor_b32 exec_lo, exec_lo, s16
	s_cbranch_execz .LBB16_6
; %bb.3:
	s_clause 0x2
	s_load_b32 s17, s[0:1], 0x10
	s_load_b32 s18, s[0:1], 0x4c
	s_load_b64 s[12:13], s[0:1], 0x8
	v_dual_mov_b32 v2, 0 :: v_dual_mov_b32 v3, 0
	v_mov_b32_e32 v4, v0
	s_waitcnt lgkmcnt(0)
	s_mul_i32 s17, s15, s17
	s_and_b32 s15, s18, 0xffff
	s_mov_b32 s18, 0
	s_set_inst_prefetch_distance 0x1
	.p2align	6
.LBB16_4:                               ; =>This Inner Loop Header: Depth=1
	v_add_nc_u32_e32 v1, s17, v4
	s_delay_alu instid0(VALU_DEP_1) | instskip(SKIP_2) | instid1(VALU_DEP_2)
	v_lshlrev_b64 v[5:6], 1, v[1:2]
	v_add_nc_u32_e32 v1, s14, v4
	v_add_nc_u32_e32 v4, s15, v4
	v_lshlrev_b64 v[7:8], 1, v[1:2]
	s_delay_alu instid0(VALU_DEP_4) | instskip(SKIP_1) | instid1(VALU_DEP_3)
	v_add_co_u32 v5, vcc_lo, s12, v5
	v_add_co_ci_u32_e32 v6, vcc_lo, s13, v6, vcc_lo
	v_add_co_u32 v7, vcc_lo, s8, v7
	s_delay_alu instid0(VALU_DEP_4)
	v_add_co_ci_u32_e32 v8, vcc_lo, s9, v8, vcc_lo
	global_load_u16 v1, v[5:6], off
	global_load_u16 v5, v[7:8], off
	s_waitcnt vmcnt(1)
	v_lshlrev_b32_e32 v1, 16, v1
	s_waitcnt vmcnt(0)
	v_lshlrev_b32_e32 v5, 16, v5
	s_delay_alu instid0(VALU_DEP_1) | instskip(NEXT) | instid1(VALU_DEP_1)
	v_add_f32_e32 v1, v1, v5
	v_bfe_u32 v5, v1, 16, 1
	v_cmp_o_f32_e32 vcc_lo, v1, v1
	s_delay_alu instid0(VALU_DEP_2) | instskip(NEXT) | instid1(VALU_DEP_1)
	v_add3_u32 v5, v1, v5, 0x7fff
	v_lshrrev_b32_e32 v5, 16, v5
	s_delay_alu instid0(VALU_DEP_1) | instskip(SKIP_1) | instid1(VALU_DEP_2)
	v_cndmask_b32_e32 v1, 0x7fc0, v5, vcc_lo
	v_cmp_le_i32_e32 vcc_lo, s3, v4
	v_lshlrev_b32_e32 v5, 16, v1
	s_or_b32 s18, vcc_lo, s18
	global_store_b16 v[7:8], v1, off
	v_fmac_f32_e32 v3, v5, v5
	s_and_not1_b32 exec_lo, exec_lo, s18
	s_cbranch_execnz .LBB16_4
; %bb.5:
	s_set_inst_prefetch_distance 0x2
	s_or_b32 exec_lo, exec_lo, s18
	v_mov_b32_e32 v6, s15
.LBB16_6:
	s_or_b32 exec_lo, exec_lo, s16
	v_mbcnt_lo_u32_b32 v1, -1, 0
	v_and_b32_e32 v4, 0x3e0, v0
	s_mov_b32 s12, exec_lo
	s_delay_alu instid0(VALU_DEP_2) | instskip(NEXT) | instid1(VALU_DEP_2)
	v_cmp_ne_u32_e32 vcc_lo, 31, v1
	v_sub_nc_u32_e64 v13, v6, v4 clamp
	v_add_nc_u32_e32 v4, 1, v1
	v_add_co_ci_u32_e32 v2, vcc_lo, 0, v1, vcc_lo
	v_cmp_gt_u32_e32 vcc_lo, 30, v1
	s_delay_alu instid0(VALU_DEP_2)
	v_lshlrev_b32_e32 v2, 2, v2
	v_cndmask_b32_e64 v7, 0, 1, vcc_lo
	v_cmp_lt_u32_e32 vcc_lo, v4, v13
	ds_bpermute_b32 v5, v2, v3
	s_waitcnt lgkmcnt(0)
	v_dual_add_f32 v8, v3, v5 :: v_dual_lshlrev_b32 v7, 1, v7
	s_delay_alu instid0(VALU_DEP_1) | instskip(NEXT) | instid1(VALU_DEP_2)
	v_add_lshl_u32 v5, v7, v1, 2
	v_cndmask_b32_e32 v8, v3, v8, vcc_lo
	v_cmp_gt_u32_e32 vcc_lo, 28, v1
	v_cndmask_b32_e64 v3, 0, 1, vcc_lo
	s_delay_alu instid0(VALU_DEP_1) | instskip(SKIP_3) | instid1(VALU_DEP_1)
	v_lshlrev_b32_e32 v9, 2, v3
	ds_bpermute_b32 v7, v5, v8
	s_waitcnt lgkmcnt(0)
	v_dual_add_f32 v10, v8, v7 :: v_dual_add_nc_u32 v3, 2, v1
	v_cmp_lt_u32_e32 vcc_lo, v3, v13
	v_add_lshl_u32 v7, v9, v1, 2
	s_delay_alu instid0(VALU_DEP_3) | instskip(SKIP_2) | instid1(VALU_DEP_1)
	v_cndmask_b32_e32 v10, v8, v10, vcc_lo
	v_cmp_gt_u32_e32 vcc_lo, 24, v1
	v_cndmask_b32_e64 v8, 0, 1, vcc_lo
	v_lshlrev_b32_e32 v11, 3, v8
	ds_bpermute_b32 v9, v7, v10
	v_add_nc_u32_e32 v8, 4, v1
	s_delay_alu instid0(VALU_DEP_1) | instskip(SKIP_3) | instid1(VALU_DEP_2)
	v_cmp_lt_u32_e32 vcc_lo, v8, v13
	s_waitcnt lgkmcnt(0)
	v_add_f32_e32 v12, v10, v9
	v_add_lshl_u32 v9, v11, v1, 2
	v_cndmask_b32_e32 v12, v10, v12, vcc_lo
	v_cmp_gt_u32_e32 vcc_lo, 16, v1
	ds_bpermute_b32 v11, v9, v12
	v_cndmask_b32_e64 v10, 0, 1, vcc_lo
	s_delay_alu instid0(VALU_DEP_1) | instskip(SKIP_1) | instid1(VALU_DEP_1)
	v_lshlrev_b32_e32 v14, 4, v10
	v_add_nc_u32_e32 v10, 8, v1
	v_cmp_lt_u32_e32 vcc_lo, v10, v13
	s_waitcnt lgkmcnt(0)
	v_add_f32_e32 v15, v12, v11
	v_add_lshl_u32 v11, v14, v1, 2
	s_delay_alu instid0(VALU_DEP_2)
	v_cndmask_b32_e32 v14, v12, v15, vcc_lo
	v_add_nc_u32_e32 v12, 16, v1
	ds_bpermute_b32 v15, v11, v14
	v_cmp_lt_u32_e32 vcc_lo, v12, v13
	s_waitcnt lgkmcnt(0)
	v_add_f32_e32 v15, v14, v15
	s_delay_alu instid0(VALU_DEP_1)
	v_cndmask_b32_e32 v13, v14, v15, vcc_lo
	v_cmpx_eq_u32_e32 0, v1
	s_cbranch_execz .LBB16_8
; %bb.7:
	v_lshrrev_b32_e32 v14, 3, v0
	s_delay_alu instid0(VALU_DEP_1)
	v_and_b32_e32 v14, 0x7c, v14
	ds_store_b32 v14, v13
.LBB16_8:
	s_or_b32 exec_lo, exec_lo, s12
	s_delay_alu instid0(SALU_CYCLE_1)
	s_mov_b32 s12, exec_lo
	s_waitcnt lgkmcnt(0)
	s_waitcnt_vscnt null, 0x0
	s_barrier
	buffer_gl0_inv
	v_cmpx_gt_u32_e32 32, v0
	s_cbranch_execz .LBB16_10
; %bb.9:
	v_lshlrev_b32_e32 v1, 2, v1
	v_add_nc_u32_e32 v13, 31, v6
	ds_load_b32 v1, v1
	v_lshrrev_b32_e32 v13, 5, v13
	s_delay_alu instid0(VALU_DEP_1) | instskip(SKIP_4) | instid1(VALU_DEP_1)
	v_cmp_lt_u32_e32 vcc_lo, v4, v13
	s_waitcnt lgkmcnt(0)
	ds_bpermute_b32 v2, v2, v1
	s_waitcnt lgkmcnt(0)
	v_add_f32_e32 v2, v1, v2
	v_cndmask_b32_e32 v1, v1, v2, vcc_lo
	v_cmp_lt_u32_e32 vcc_lo, v3, v13
	ds_bpermute_b32 v2, v5, v1
	s_waitcnt lgkmcnt(0)
	v_add_f32_e32 v2, v1, v2
	s_delay_alu instid0(VALU_DEP_1) | instskip(SKIP_4) | instid1(VALU_DEP_1)
	v_cndmask_b32_e32 v1, v1, v2, vcc_lo
	v_cmp_lt_u32_e32 vcc_lo, v8, v13
	ds_bpermute_b32 v2, v7, v1
	s_waitcnt lgkmcnt(0)
	v_add_f32_e32 v2, v1, v2
	v_cndmask_b32_e32 v1, v1, v2, vcc_lo
	v_cmp_lt_u32_e32 vcc_lo, v10, v13
	ds_bpermute_b32 v2, v9, v1
	s_waitcnt lgkmcnt(0)
	v_add_f32_e32 v2, v1, v2
	s_delay_alu instid0(VALU_DEP_1) | instskip(SKIP_4) | instid1(VALU_DEP_1)
	v_cndmask_b32_e32 v1, v1, v2, vcc_lo
	v_cmp_lt_u32_e32 vcc_lo, v12, v13
	ds_bpermute_b32 v2, v11, v1
	s_waitcnt lgkmcnt(0)
	v_add_f32_e32 v2, v1, v2
	v_cndmask_b32_e32 v13, v1, v2, vcc_lo
.LBB16_10:
	s_or_b32 exec_lo, exec_lo, s12
	s_delay_alu instid0(SALU_CYCLE_1)
	s_mov_b32 s12, exec_lo
	v_cmpx_eq_u32_e32 0, v0
	s_cbranch_execz .LBB16_12
; %bb.11:
	v_cvt_f32_i32_e32 v1, s3
	s_load_b32 s0, s[0:1], 0x30
	s_delay_alu instid0(VALU_DEP_1) | instskip(SKIP_1) | instid1(VALU_DEP_2)
	v_div_scale_f32 v2, null, v1, v1, v13
	v_div_scale_f32 v5, vcc_lo, v13, v1, v13
	v_rcp_f32_e32 v3, v2
	s_waitcnt_depctr 0xfff
	v_fma_f32 v4, -v2, v3, 1.0
	s_delay_alu instid0(VALU_DEP_1) | instskip(NEXT) | instid1(VALU_DEP_1)
	v_fmac_f32_e32 v3, v4, v3
	v_mul_f32_e32 v4, v5, v3
	s_delay_alu instid0(VALU_DEP_1) | instskip(NEXT) | instid1(VALU_DEP_1)
	v_fma_f32 v7, -v2, v4, v5
	v_fmac_f32_e32 v4, v7, v3
	s_delay_alu instid0(VALU_DEP_1) | instskip(NEXT) | instid1(VALU_DEP_1)
	v_fma_f32 v2, -v2, v4, v5
	v_div_fmas_f32 v2, v2, v3, v4
	s_delay_alu instid0(VALU_DEP_1) | instskip(SKIP_1) | instid1(VALU_DEP_1)
	v_div_fixup_f32 v1, v2, v1, v13
	s_waitcnt lgkmcnt(0)
	v_add_f32_e32 v1, s0, v1
	s_delay_alu instid0(VALU_DEP_1) | instskip(SKIP_1) | instid1(VALU_DEP_2)
	v_mul_f32_e32 v2, 0x4b800000, v1
	v_cmp_gt_f32_e32 vcc_lo, 0x800000, v1
	v_cndmask_b32_e32 v1, v1, v2, vcc_lo
	s_delay_alu instid0(VALU_DEP_1) | instskip(SKIP_2) | instid1(VALU_DEP_1)
	v_rsq_f32_e32 v1, v1
	s_waitcnt_depctr 0xfff
	v_mul_f32_e32 v2, 0x45800000, v1
	v_dual_cndmask_b32 v1, v1, v2 :: v_dual_mov_b32 v2, 0
	ds_store_b32 v2, v1 offset:128
.LBB16_12:
	s_or_b32 exec_lo, exec_lo, s12
	s_waitcnt lgkmcnt(0)
	s_barrier
	buffer_gl0_inv
	s_and_saveexec_b32 s0, s2
	s_cbranch_execz .LBB16_31
; %bb.13:
	s_load_b32 s0, s[6:7], 0x0
	s_mov_b32 s2, 0
	s_mov_b32 s6, 0x43e00000
	s_waitcnt lgkmcnt(0)
	v_div_scale_f32 v1, null, s0, s0, 1.0
	v_div_scale_f32 v4, vcc_lo, 1.0, s0, 1.0
	s_delay_alu instid0(VALU_DEP_2) | instskip(SKIP_2) | instid1(VALU_DEP_1)
	v_rcp_f32_e32 v2, v1
	s_waitcnt_depctr 0xfff
	v_fma_f32 v3, -v1, v2, 1.0
	v_dual_fmac_f32 v2, v3, v2 :: v_dual_mov_b32 v3, 0
	s_delay_alu instid0(VALU_DEP_1) | instskip(NEXT) | instid1(VALU_DEP_1)
	v_mul_f32_e32 v5, v4, v2
	v_fma_f32 v7, -v1, v5, v4
	s_delay_alu instid0(VALU_DEP_1) | instskip(SKIP_2) | instid1(VALU_DEP_1)
	v_fmac_f32_e32 v5, v7, v2
	ds_load_b32 v7, v3 offset:128
	v_fma_f32 v1, -v1, v5, v4
	v_div_fmas_f32 v1, v1, v2, v5
	s_delay_alu instid0(VALU_DEP_1)
	v_div_fixup_f32 v8, v1, s0, 1.0
	s_branch .LBB16_15
.LBB16_14:                              ;   in Loop: Header=BB16_15 Depth=1
	s_or_b32 exec_lo, exec_lo, s0
	v_add_nc_u32_e32 v0, v0, v6
	v_add_co_u32 v1, s0, s10, v2
	s_delay_alu instid0(VALU_DEP_1) | instskip(NEXT) | instid1(VALU_DEP_3)
	v_add_co_ci_u32_e64 v2, null, s11, 0, s0
	v_cmp_le_i32_e32 vcc_lo, s3, v0
	global_store_b8 v[1:2], v9, off
	s_or_b32 s2, vcc_lo, s2
	s_delay_alu instid0(SALU_CYCLE_1)
	s_and_not1_b32 exec_lo, exec_lo, s2
	s_cbranch_execz .LBB16_31
.LBB16_15:                              ; =>This Inner Loop Header: Depth=1
	v_add_nc_u32_e32 v2, s14, v0
	v_ashrrev_i32_e32 v1, 31, v0
	s_mov_b32 s0, exec_lo
	v_mov_b32_e32 v13, v3
	s_delay_alu instid0(VALU_DEP_3) | instskip(NEXT) | instid1(VALU_DEP_1)
	v_lshlrev_b64 v[4:5], 1, v[2:3]
	v_add_co_u32 v4, vcc_lo, s8, v4
	s_delay_alu instid0(VALU_DEP_2) | instskip(SKIP_2) | instid1(VALU_DEP_1)
	v_add_co_ci_u32_e32 v5, vcc_lo, s9, v5, vcc_lo
	global_load_u16 v9, v[4:5], off
	v_lshlrev_b64 v[4:5], 1, v[0:1]
	v_add_co_u32 v4, vcc_lo, s4, v4
	s_delay_alu instid0(VALU_DEP_2) | instskip(SKIP_4) | instid1(VALU_DEP_1)
	v_add_co_ci_u32_e32 v5, vcc_lo, s5, v5, vcc_lo
	global_load_u16 v1, v[4:5], off
	s_waitcnt vmcnt(1)
	v_lshlrev_b32_e32 v4, 16, v9
	s_waitcnt lgkmcnt(0)
	v_mul_f32_e32 v4, v7, v4
	s_delay_alu instid0(VALU_DEP_1) | instskip(SKIP_2) | instid1(VALU_DEP_2)
	v_bfe_u32 v5, v4, 16, 1
	s_waitcnt vmcnt(0)
	v_lshlrev_b32_e32 v1, 16, v1
	v_add3_u32 v5, v4, v5, 0x7fff
	s_delay_alu instid0(VALU_DEP_1) | instskip(SKIP_1) | instid1(VALU_DEP_2)
	v_and_b32_e32 v5, 0xffff0000, v5
	v_cmp_o_f32_e32 vcc_lo, v4, v4
	v_dual_cndmask_b32 v4, 0x7fc00000, v5 :: v_dual_mov_b32 v5, v3
	s_delay_alu instid0(VALU_DEP_1) | instskip(NEXT) | instid1(VALU_DEP_1)
	v_mul_f32_e32 v1, v4, v1
	v_bfe_u32 v4, v1, 16, 1
	v_cmp_o_f32_e32 vcc_lo, v1, v1
	s_delay_alu instid0(VALU_DEP_2) | instskip(NEXT) | instid1(VALU_DEP_1)
	v_add3_u32 v4, v1, v4, 0x7fff
	v_and_b32_e32 v4, 0xffff0000, v4
	s_delay_alu instid0(VALU_DEP_1) | instskip(NEXT) | instid1(VALU_DEP_1)
	v_cndmask_b32_e32 v1, 0x7fc00000, v4, vcc_lo
	v_mul_f32_e32 v1, v8, v1
	s_delay_alu instid0(VALU_DEP_1) | instskip(NEXT) | instid1(VALU_DEP_1)
	v_minmax_f32 v10, v1, s6, 0xc3e00000
	v_lshrrev_b32_e32 v11, 24, v10
	v_and_b32_e32 v12, 0x7f800000, v10
	v_and_b32_e32 v4, 0x7fffff, v10
	s_delay_alu instid0(VALU_DEP_3) | instskip(NEXT) | instid1(VALU_DEP_1)
	v_and_b32_e32 v1, 0x80, v11
	v_or_b32_e32 v9, 0x7e, v1
	s_delay_alu instid0(VALU_DEP_4)
	v_cmpx_ne_u64_e32 0x7f800000, v[12:13]
	s_xor_b32 s7, exec_lo, s0
	s_cbranch_execz .LBB16_29
; %bb.16:                               ;   in Loop: Header=BB16_15 Depth=1
	v_dual_mov_b32 v12, v3 :: v_dual_and_b32 v11, 0x7fffffff, v10
	s_mov_b32 s0, exec_lo
	s_delay_alu instid0(VALU_DEP_1)
	v_cmpx_gt_u64_e32 0x43e00001, v[11:12]
	s_xor_b32 s12, exec_lo, s0
	s_cbranch_execz .LBB16_28
; %bb.17:                               ;   in Loop: Header=BB16_15 Depth=1
	v_mov_b32_e32 v9, 0
	s_mov_b32 s13, exec_lo
	v_cmpx_ne_u32_e32 0, v10
	s_cbranch_execz .LBB16_27
; %bb.18:                               ;   in Loop: Header=BB16_15 Depth=1
	v_bfe_u32 v11, v10, 23, 8
	s_delay_alu instid0(VALU_DEP_1) | instskip(SKIP_2) | instid1(VALU_DEP_3)
	v_sub_nc_u32_e64 v9, 0x79, v11 clamp
	v_cmp_eq_u32_e32 vcc_lo, 0, v11
	v_add_nc_u32_e32 v11, 0xffffff88, v11
	v_cndmask_b32_e64 v16, v9, 0x78, vcc_lo
	v_or_b32_e32 v9, 0x800000, v4
	s_delay_alu instid0(VALU_DEP_2) | instskip(NEXT) | instid1(VALU_DEP_2)
	v_add_nc_u32_e32 v10, 20, v16
	v_cndmask_b32_e32 v4, v9, v4, vcc_lo
	v_add_nc_u32_e32 v14, 19, v16
	s_delay_alu instid0(VALU_DEP_3) | instskip(NEXT) | instid1(VALU_DEP_3)
	v_lshlrev_b64 v[9:10], v10, -1
	v_lshrrev_b64 v[12:13], v16, v[4:5]
	s_delay_alu instid0(VALU_DEP_3) | instskip(NEXT) | instid1(VALU_DEP_3)
	v_lshlrev_b64 v[14:15], v14, 1
	v_not_b32_e32 v5, v10
	s_delay_alu instid0(VALU_DEP_4) | instskip(NEXT) | instid1(VALU_DEP_4)
	v_not_b32_e32 v17, v9
	v_dual_mov_b32 v10, v3 :: v_dual_and_b32 v9, 0x100000, v12
	s_delay_alu instid0(VALU_DEP_3) | instskip(NEXT) | instid1(VALU_DEP_3)
	v_and_b32_e32 v5, 0, v5
	v_and_b32_e32 v4, v4, v17
	s_delay_alu instid0(VALU_DEP_3) | instskip(NEXT) | instid1(VALU_DEP_2)
	v_cmp_eq_u64_e64 s0, 0, v[9:10]
	v_cmp_eq_u64_e64 s1, v[4:5], v[14:15]
	v_cndmask_b32_e64 v4, v11, 0xffffff89, vcc_lo
	v_lshrrev_b32_e32 v5, 23, v12
	s_delay_alu instid0(VALU_DEP_3) | instskip(NEXT) | instid1(VALU_DEP_1)
	s_and_b32 vcc_lo, s0, s1
	v_add3_u32 v9, v4, v16, v5
	v_subrev_co_ci_u32_e32 v10, vcc_lo, 0, v12, vcc_lo
	s_mov_b32 s0, exec_lo
	s_delay_alu instid0(VALU_DEP_2) | instskip(NEXT) | instid1(VALU_DEP_2)
	v_add_nc_u32_e32 v11, -1, v9
	v_and_b32_e32 v4, 0xfffff, v10
                                        ; implicit-def: $vgpr10
	s_delay_alu instid0(VALU_DEP_1) | instskip(SKIP_1) | instid1(VALU_DEP_4)
	v_add_co_u32 v4, vcc_lo, v4, v12
	v_add_co_ci_u32_e32 v5, vcc_lo, 0, v13, vcc_lo
	v_cmpx_ne_u32_e32 0, v11
	s_xor_b32 s0, exec_lo, s0
; %bb.19:                               ;   in Loop: Header=BB16_15 Depth=1
	s_delay_alu instid0(VALU_DEP_3) | instskip(SKIP_1) | instid1(VALU_DEP_2)
	v_dual_mov_b32 v13, v3 :: v_dual_and_b32 v12, 0x1000000, v4
	v_bfe_u32 v10, v4, 24, 1
	v_cmp_eq_u64_e32 vcc_lo, 0, v[12:13]
	s_delay_alu instid0(VALU_DEP_2)
	v_lshrrev_b64 v[4:5], v10, v[4:5]
	v_cndmask_b32_e32 v10, v9, v11, vcc_lo
; %bb.20:                               ;   in Loop: Header=BB16_15 Depth=1
	s_and_not1_saveexec_b32 s0, s0
; %bb.21:                               ;   in Loop: Header=BB16_15 Depth=1
	s_delay_alu instid0(VALU_DEP_2)
	v_bfe_u32 v10, v4, 23, 1
; %bb.22:                               ;   in Loop: Header=BB16_15 Depth=1
	s_or_b32 exec_lo, exec_lo, s0
	s_delay_alu instid0(VALU_DEP_3) | instskip(NEXT) | instid1(VALU_DEP_2)
	v_lshrrev_b64 v[4:5], 20, v[4:5]
	v_cmp_gt_i32_e32 vcc_lo, 16, v10
	v_cmp_ne_u32_e64 s0, 0, v10
                                        ; implicit-def: $vgpr9
	s_delay_alu instid0(VALU_DEP_3) | instskip(NEXT) | instid1(VALU_DEP_1)
	v_dual_cndmask_b32 v5, 0, v5 :: v_dual_cndmask_b32 v4, 7, v4
	v_cmp_ne_u64_e32 vcc_lo, 0, v[4:5]
	s_delay_alu instid0(VALU_DEP_3) | instskip(NEXT) | instid1(SALU_CYCLE_1)
	s_or_b32 s0, s0, vcc_lo
	s_and_saveexec_b32 s1, s0
	s_delay_alu instid0(SALU_CYCLE_1)
	s_xor_b32 s0, exec_lo, s1
; %bb.23:                               ;   in Loop: Header=BB16_15 Depth=1
	v_min_i32_e32 v5, 15, v10
	s_delay_alu instid0(VALU_DEP_1) | instskip(NEXT) | instid1(VALU_DEP_1)
	v_lshl_or_b32 v1, v5, 3, v1
	v_and_or_b32 v9, v4, 7, v1
                                        ; implicit-def: $vgpr1
; %bb.24:                               ;   in Loop: Header=BB16_15 Depth=1
	s_and_not1_saveexec_b32 s0, s0
; %bb.25:                               ;   in Loop: Header=BB16_15 Depth=1
	v_mov_b32_e32 v9, v1
; %bb.26:                               ;   in Loop: Header=BB16_15 Depth=1
	s_or_b32 exec_lo, exec_lo, s0
.LBB16_27:                              ;   in Loop: Header=BB16_15 Depth=1
	s_delay_alu instid0(SALU_CYCLE_1)
	s_or_b32 exec_lo, exec_lo, s13
.LBB16_28:                              ;   in Loop: Header=BB16_15 Depth=1
	s_and_not1_saveexec_b32 s0, s12
	s_delay_alu instid0(SALU_CYCLE_1)
	s_or_b32 exec_lo, exec_lo, s0
                                        ; implicit-def: $vgpr11
                                        ; implicit-def: $vgpr4_vgpr5
.LBB16_29:                              ;   in Loop: Header=BB16_15 Depth=1
	s_and_not1_saveexec_b32 s0, s7
	s_cbranch_execz .LBB16_14
; %bb.30:                               ;   in Loop: Header=BB16_15 Depth=1
	v_cmp_eq_u64_e32 vcc_lo, 0, v[4:5]
	v_or_b32_e32 v1, 0x7f, v11
	s_delay_alu instid0(VALU_DEP_1)
	v_cndmask_b32_e32 v9, v1, v9, vcc_lo
	s_branch .LBB16_14
.LBB16_31:
	s_nop 0
	s_sendmsg sendmsg(MSG_DEALLOC_VGPRS)
	s_endpgm
	.section	.rodata,"a",@progbits
	.p2align	6, 0x0
	.amdhsa_kernel _ZN4vllm42fused_add_rms_norm_static_fp8_quant_kernelIN3c108BFloat16ELi0ENS1_13Float8_e4m3fnEEENSt9enable_ifIXooeqT0_Li0Entsr12_typeConvertIT_EE6existsEvE4typeEPT1_PS5_iSA_PKS5_PKffii
		.amdhsa_group_segment_fixed_size 132
		.amdhsa_private_segment_fixed_size 0
		.amdhsa_kernarg_size 320
		.amdhsa_user_sgpr_count 15
		.amdhsa_user_sgpr_dispatch_ptr 0
		.amdhsa_user_sgpr_queue_ptr 0
		.amdhsa_user_sgpr_kernarg_segment_ptr 1
		.amdhsa_user_sgpr_dispatch_id 0
		.amdhsa_user_sgpr_private_segment_size 0
		.amdhsa_wavefront_size32 1
		.amdhsa_uses_dynamic_stack 0
		.amdhsa_enable_private_segment 0
		.amdhsa_system_sgpr_workgroup_id_x 1
		.amdhsa_system_sgpr_workgroup_id_y 0
		.amdhsa_system_sgpr_workgroup_id_z 0
		.amdhsa_system_sgpr_workgroup_info 0
		.amdhsa_system_vgpr_workitem_id 0
		.amdhsa_next_free_vgpr 18
		.amdhsa_next_free_sgpr 19
		.amdhsa_reserve_vcc 1
		.amdhsa_float_round_mode_32 0
		.amdhsa_float_round_mode_16_64 0
		.amdhsa_float_denorm_mode_32 3
		.amdhsa_float_denorm_mode_16_64 3
		.amdhsa_dx10_clamp 1
		.amdhsa_ieee_mode 1
		.amdhsa_fp16_overflow 0
		.amdhsa_workgroup_processor_mode 1
		.amdhsa_memory_ordered 1
		.amdhsa_forward_progress 0
		.amdhsa_shared_vgpr_count 0
		.amdhsa_exception_fp_ieee_invalid_op 0
		.amdhsa_exception_fp_denorm_src 0
		.amdhsa_exception_fp_ieee_div_zero 0
		.amdhsa_exception_fp_ieee_overflow 0
		.amdhsa_exception_fp_ieee_underflow 0
		.amdhsa_exception_fp_ieee_inexact 0
		.amdhsa_exception_int_div_zero 0
	.end_amdhsa_kernel
	.section	.text._ZN4vllm42fused_add_rms_norm_static_fp8_quant_kernelIN3c108BFloat16ELi0ENS1_13Float8_e4m3fnEEENSt9enable_ifIXooeqT0_Li0Entsr12_typeConvertIT_EE6existsEvE4typeEPT1_PS5_iSA_PKS5_PKffii,"axG",@progbits,_ZN4vllm42fused_add_rms_norm_static_fp8_quant_kernelIN3c108BFloat16ELi0ENS1_13Float8_e4m3fnEEENSt9enable_ifIXooeqT0_Li0Entsr12_typeConvertIT_EE6existsEvE4typeEPT1_PS5_iSA_PKS5_PKffii,comdat
.Lfunc_end16:
	.size	_ZN4vllm42fused_add_rms_norm_static_fp8_quant_kernelIN3c108BFloat16ELi0ENS1_13Float8_e4m3fnEEENSt9enable_ifIXooeqT0_Li0Entsr12_typeConvertIT_EE6existsEvE4typeEPT1_PS5_iSA_PKS5_PKffii, .Lfunc_end16-_ZN4vllm42fused_add_rms_norm_static_fp8_quant_kernelIN3c108BFloat16ELi0ENS1_13Float8_e4m3fnEEENSt9enable_ifIXooeqT0_Li0Entsr12_typeConvertIT_EE6existsEvE4typeEPT1_PS5_iSA_PKS5_PKffii
                                        ; -- End function
	.section	.AMDGPU.csdata,"",@progbits
; Kernel info:
; codeLenInByte = 2144
; NumSgprs: 21
; NumVgprs: 18
; ScratchSize: 0
; MemoryBound: 0
; FloatMode: 240
; IeeeMode: 1
; LDSByteSize: 132 bytes/workgroup (compile time only)
; SGPRBlocks: 2
; VGPRBlocks: 2
; NumSGPRsForWavesPerEU: 21
; NumVGPRsForWavesPerEU: 18
; Occupancy: 16
; WaveLimiterHint : 0
; COMPUTE_PGM_RSRC2:SCRATCH_EN: 0
; COMPUTE_PGM_RSRC2:USER_SGPR: 15
; COMPUTE_PGM_RSRC2:TRAP_HANDLER: 0
; COMPUTE_PGM_RSRC2:TGID_X_EN: 1
; COMPUTE_PGM_RSRC2:TGID_Y_EN: 0
; COMPUTE_PGM_RSRC2:TGID_Z_EN: 0
; COMPUTE_PGM_RSRC2:TIDIG_COMP_CNT: 0
	.section	.text._ZN4vllm42fused_add_rms_norm_static_fp8_quant_kernelIN3c108BFloat16ELi0ENS1_15Float8_e4m3fnuzEEENSt9enable_ifIXooeqT0_Li0Entsr12_typeConvertIT_EE6existsEvE4typeEPT1_PS5_iSA_PKS5_PKffii,"axG",@progbits,_ZN4vllm42fused_add_rms_norm_static_fp8_quant_kernelIN3c108BFloat16ELi0ENS1_15Float8_e4m3fnuzEEENSt9enable_ifIXooeqT0_Li0Entsr12_typeConvertIT_EE6existsEvE4typeEPT1_PS5_iSA_PKS5_PKffii,comdat
	.protected	_ZN4vllm42fused_add_rms_norm_static_fp8_quant_kernelIN3c108BFloat16ELi0ENS1_15Float8_e4m3fnuzEEENSt9enable_ifIXooeqT0_Li0Entsr12_typeConvertIT_EE6existsEvE4typeEPT1_PS5_iSA_PKS5_PKffii ; -- Begin function _ZN4vllm42fused_add_rms_norm_static_fp8_quant_kernelIN3c108BFloat16ELi0ENS1_15Float8_e4m3fnuzEEENSt9enable_ifIXooeqT0_Li0Entsr12_typeConvertIT_EE6existsEvE4typeEPT1_PS5_iSA_PKS5_PKffii
	.globl	_ZN4vllm42fused_add_rms_norm_static_fp8_quant_kernelIN3c108BFloat16ELi0ENS1_15Float8_e4m3fnuzEEENSt9enable_ifIXooeqT0_Li0Entsr12_typeConvertIT_EE6existsEvE4typeEPT1_PS5_iSA_PKS5_PKffii
	.p2align	8
	.type	_ZN4vllm42fused_add_rms_norm_static_fp8_quant_kernelIN3c108BFloat16ELi0ENS1_15Float8_e4m3fnuzEEENSt9enable_ifIXooeqT0_Li0Entsr12_typeConvertIT_EE6existsEvE4typeEPT1_PS5_iSA_PKS5_PKffii,@function
_ZN4vllm42fused_add_rms_norm_static_fp8_quant_kernelIN3c108BFloat16ELi0ENS1_15Float8_e4m3fnuzEEENSt9enable_ifIXooeqT0_Li0Entsr12_typeConvertIT_EE6existsEvE4typeEPT1_PS5_iSA_PKS5_PKffii: ; @_ZN4vllm42fused_add_rms_norm_static_fp8_quant_kernelIN3c108BFloat16ELi0ENS1_15Float8_e4m3fnuzEEENSt9enable_ifIXooeqT0_Li0Entsr12_typeConvertIT_EE6existsEvE4typeEPT1_PS5_iSA_PKS5_PKffii
; %bb.0:
	s_clause 0x1
	s_load_b32 s3, s[0:1], 0x38
	s_load_b64 s[8:9], s[0:1], 0x18
	s_mov_b32 s4, exec_lo
                                        ; implicit-def: $sgpr13
                                        ; implicit-def: $sgpr12
	s_waitcnt lgkmcnt(0)
	v_cmp_gt_i32_e64 s2, s3, v0
	v_cmpx_le_i32_e64 s3, v0
	s_xor_b32 s4, exec_lo, s4
	s_cbranch_execz .LBB17_2
; %bb.1:
	s_load_b32 s5, s[0:1], 0x4c
	s_mov_b32 s13, 0
	s_waitcnt lgkmcnt(0)
	s_and_b32 s12, s5, 0xffff
.LBB17_2:
	s_or_saveexec_b32 s16, s4
	s_clause 0x1
	s_load_b64 s[10:11], s[0:1], 0x0
	s_load_b128 s[4:7], s[0:1], 0x20
	v_dual_mov_b32 v3, s13 :: v_dual_mov_b32 v6, s12
	s_mul_i32 s14, s15, s3
	s_xor_b32 exec_lo, exec_lo, s16
	s_cbranch_execz .LBB17_6
; %bb.3:
	s_clause 0x2
	s_load_b32 s17, s[0:1], 0x10
	s_load_b32 s18, s[0:1], 0x4c
	s_load_b64 s[12:13], s[0:1], 0x8
	v_dual_mov_b32 v2, 0 :: v_dual_mov_b32 v3, 0
	v_mov_b32_e32 v4, v0
	s_waitcnt lgkmcnt(0)
	s_mul_i32 s17, s15, s17
	s_and_b32 s15, s18, 0xffff
	s_mov_b32 s18, 0
	s_set_inst_prefetch_distance 0x1
	.p2align	6
.LBB17_4:                               ; =>This Inner Loop Header: Depth=1
	v_add_nc_u32_e32 v1, s17, v4
	s_delay_alu instid0(VALU_DEP_1) | instskip(SKIP_2) | instid1(VALU_DEP_2)
	v_lshlrev_b64 v[5:6], 1, v[1:2]
	v_add_nc_u32_e32 v1, s14, v4
	v_add_nc_u32_e32 v4, s15, v4
	v_lshlrev_b64 v[7:8], 1, v[1:2]
	s_delay_alu instid0(VALU_DEP_4) | instskip(SKIP_1) | instid1(VALU_DEP_3)
	v_add_co_u32 v5, vcc_lo, s12, v5
	v_add_co_ci_u32_e32 v6, vcc_lo, s13, v6, vcc_lo
	v_add_co_u32 v7, vcc_lo, s8, v7
	s_delay_alu instid0(VALU_DEP_4)
	v_add_co_ci_u32_e32 v8, vcc_lo, s9, v8, vcc_lo
	global_load_u16 v1, v[5:6], off
	global_load_u16 v5, v[7:8], off
	s_waitcnt vmcnt(1)
	v_lshlrev_b32_e32 v1, 16, v1
	s_waitcnt vmcnt(0)
	v_lshlrev_b32_e32 v5, 16, v5
	s_delay_alu instid0(VALU_DEP_1) | instskip(NEXT) | instid1(VALU_DEP_1)
	v_add_f32_e32 v1, v1, v5
	v_bfe_u32 v5, v1, 16, 1
	v_cmp_o_f32_e32 vcc_lo, v1, v1
	s_delay_alu instid0(VALU_DEP_2) | instskip(NEXT) | instid1(VALU_DEP_1)
	v_add3_u32 v5, v1, v5, 0x7fff
	v_lshrrev_b32_e32 v5, 16, v5
	s_delay_alu instid0(VALU_DEP_1) | instskip(SKIP_1) | instid1(VALU_DEP_2)
	v_cndmask_b32_e32 v1, 0x7fc0, v5, vcc_lo
	v_cmp_le_i32_e32 vcc_lo, s3, v4
	v_lshlrev_b32_e32 v5, 16, v1
	s_or_b32 s18, vcc_lo, s18
	global_store_b16 v[7:8], v1, off
	v_fmac_f32_e32 v3, v5, v5
	s_and_not1_b32 exec_lo, exec_lo, s18
	s_cbranch_execnz .LBB17_4
; %bb.5:
	s_set_inst_prefetch_distance 0x2
	s_or_b32 exec_lo, exec_lo, s18
	v_mov_b32_e32 v6, s15
.LBB17_6:
	s_or_b32 exec_lo, exec_lo, s16
	v_mbcnt_lo_u32_b32 v1, -1, 0
	v_and_b32_e32 v4, 0x3e0, v0
	s_mov_b32 s12, exec_lo
	s_delay_alu instid0(VALU_DEP_2) | instskip(NEXT) | instid1(VALU_DEP_2)
	v_cmp_ne_u32_e32 vcc_lo, 31, v1
	v_sub_nc_u32_e64 v13, v6, v4 clamp
	v_add_nc_u32_e32 v4, 1, v1
	v_add_co_ci_u32_e32 v2, vcc_lo, 0, v1, vcc_lo
	v_cmp_gt_u32_e32 vcc_lo, 30, v1
	s_delay_alu instid0(VALU_DEP_2)
	v_lshlrev_b32_e32 v2, 2, v2
	v_cndmask_b32_e64 v7, 0, 1, vcc_lo
	v_cmp_lt_u32_e32 vcc_lo, v4, v13
	ds_bpermute_b32 v5, v2, v3
	s_waitcnt lgkmcnt(0)
	v_dual_add_f32 v8, v3, v5 :: v_dual_lshlrev_b32 v7, 1, v7
	s_delay_alu instid0(VALU_DEP_1) | instskip(NEXT) | instid1(VALU_DEP_2)
	v_add_lshl_u32 v5, v7, v1, 2
	v_cndmask_b32_e32 v8, v3, v8, vcc_lo
	v_cmp_gt_u32_e32 vcc_lo, 28, v1
	v_cndmask_b32_e64 v3, 0, 1, vcc_lo
	s_delay_alu instid0(VALU_DEP_1) | instskip(SKIP_3) | instid1(VALU_DEP_1)
	v_lshlrev_b32_e32 v9, 2, v3
	ds_bpermute_b32 v7, v5, v8
	s_waitcnt lgkmcnt(0)
	v_dual_add_f32 v10, v8, v7 :: v_dual_add_nc_u32 v3, 2, v1
	v_cmp_lt_u32_e32 vcc_lo, v3, v13
	v_add_lshl_u32 v7, v9, v1, 2
	s_delay_alu instid0(VALU_DEP_3) | instskip(SKIP_2) | instid1(VALU_DEP_1)
	v_cndmask_b32_e32 v10, v8, v10, vcc_lo
	v_cmp_gt_u32_e32 vcc_lo, 24, v1
	v_cndmask_b32_e64 v8, 0, 1, vcc_lo
	v_lshlrev_b32_e32 v11, 3, v8
	ds_bpermute_b32 v9, v7, v10
	v_add_nc_u32_e32 v8, 4, v1
	s_delay_alu instid0(VALU_DEP_1) | instskip(SKIP_3) | instid1(VALU_DEP_2)
	v_cmp_lt_u32_e32 vcc_lo, v8, v13
	s_waitcnt lgkmcnt(0)
	v_add_f32_e32 v12, v10, v9
	v_add_lshl_u32 v9, v11, v1, 2
	v_cndmask_b32_e32 v12, v10, v12, vcc_lo
	v_cmp_gt_u32_e32 vcc_lo, 16, v1
	ds_bpermute_b32 v11, v9, v12
	v_cndmask_b32_e64 v10, 0, 1, vcc_lo
	s_delay_alu instid0(VALU_DEP_1) | instskip(SKIP_1) | instid1(VALU_DEP_1)
	v_lshlrev_b32_e32 v14, 4, v10
	v_add_nc_u32_e32 v10, 8, v1
	v_cmp_lt_u32_e32 vcc_lo, v10, v13
	s_waitcnt lgkmcnt(0)
	v_add_f32_e32 v15, v12, v11
	v_add_lshl_u32 v11, v14, v1, 2
	s_delay_alu instid0(VALU_DEP_2)
	v_cndmask_b32_e32 v14, v12, v15, vcc_lo
	v_add_nc_u32_e32 v12, 16, v1
	ds_bpermute_b32 v15, v11, v14
	v_cmp_lt_u32_e32 vcc_lo, v12, v13
	s_waitcnt lgkmcnt(0)
	v_add_f32_e32 v15, v14, v15
	s_delay_alu instid0(VALU_DEP_1)
	v_cndmask_b32_e32 v13, v14, v15, vcc_lo
	v_cmpx_eq_u32_e32 0, v1
	s_cbranch_execz .LBB17_8
; %bb.7:
	v_lshrrev_b32_e32 v14, 3, v0
	s_delay_alu instid0(VALU_DEP_1)
	v_and_b32_e32 v14, 0x7c, v14
	ds_store_b32 v14, v13
.LBB17_8:
	s_or_b32 exec_lo, exec_lo, s12
	s_delay_alu instid0(SALU_CYCLE_1)
	s_mov_b32 s12, exec_lo
	s_waitcnt lgkmcnt(0)
	s_waitcnt_vscnt null, 0x0
	s_barrier
	buffer_gl0_inv
	v_cmpx_gt_u32_e32 32, v0
	s_cbranch_execz .LBB17_10
; %bb.9:
	v_lshlrev_b32_e32 v1, 2, v1
	v_add_nc_u32_e32 v13, 31, v6
	ds_load_b32 v1, v1
	v_lshrrev_b32_e32 v13, 5, v13
	s_delay_alu instid0(VALU_DEP_1) | instskip(SKIP_4) | instid1(VALU_DEP_1)
	v_cmp_lt_u32_e32 vcc_lo, v4, v13
	s_waitcnt lgkmcnt(0)
	ds_bpermute_b32 v2, v2, v1
	s_waitcnt lgkmcnt(0)
	v_add_f32_e32 v2, v1, v2
	v_cndmask_b32_e32 v1, v1, v2, vcc_lo
	v_cmp_lt_u32_e32 vcc_lo, v3, v13
	ds_bpermute_b32 v2, v5, v1
	s_waitcnt lgkmcnt(0)
	v_add_f32_e32 v2, v1, v2
	s_delay_alu instid0(VALU_DEP_1) | instskip(SKIP_4) | instid1(VALU_DEP_1)
	v_cndmask_b32_e32 v1, v1, v2, vcc_lo
	v_cmp_lt_u32_e32 vcc_lo, v8, v13
	ds_bpermute_b32 v2, v7, v1
	s_waitcnt lgkmcnt(0)
	v_add_f32_e32 v2, v1, v2
	v_cndmask_b32_e32 v1, v1, v2, vcc_lo
	v_cmp_lt_u32_e32 vcc_lo, v10, v13
	ds_bpermute_b32 v2, v9, v1
	s_waitcnt lgkmcnt(0)
	v_add_f32_e32 v2, v1, v2
	s_delay_alu instid0(VALU_DEP_1) | instskip(SKIP_4) | instid1(VALU_DEP_1)
	v_cndmask_b32_e32 v1, v1, v2, vcc_lo
	v_cmp_lt_u32_e32 vcc_lo, v12, v13
	ds_bpermute_b32 v2, v11, v1
	s_waitcnt lgkmcnt(0)
	v_add_f32_e32 v2, v1, v2
	v_cndmask_b32_e32 v13, v1, v2, vcc_lo
.LBB17_10:
	s_or_b32 exec_lo, exec_lo, s12
	s_delay_alu instid0(SALU_CYCLE_1)
	s_mov_b32 s12, exec_lo
	v_cmpx_eq_u32_e32 0, v0
	s_cbranch_execz .LBB17_12
; %bb.11:
	v_cvt_f32_i32_e32 v1, s3
	s_load_b32 s0, s[0:1], 0x30
	s_delay_alu instid0(VALU_DEP_1) | instskip(SKIP_1) | instid1(VALU_DEP_2)
	v_div_scale_f32 v2, null, v1, v1, v13
	v_div_scale_f32 v5, vcc_lo, v13, v1, v13
	v_rcp_f32_e32 v3, v2
	s_waitcnt_depctr 0xfff
	v_fma_f32 v4, -v2, v3, 1.0
	s_delay_alu instid0(VALU_DEP_1) | instskip(NEXT) | instid1(VALU_DEP_1)
	v_fmac_f32_e32 v3, v4, v3
	v_mul_f32_e32 v4, v5, v3
	s_delay_alu instid0(VALU_DEP_1) | instskip(NEXT) | instid1(VALU_DEP_1)
	v_fma_f32 v7, -v2, v4, v5
	v_fmac_f32_e32 v4, v7, v3
	s_delay_alu instid0(VALU_DEP_1) | instskip(NEXT) | instid1(VALU_DEP_1)
	v_fma_f32 v2, -v2, v4, v5
	v_div_fmas_f32 v2, v2, v3, v4
	s_delay_alu instid0(VALU_DEP_1) | instskip(SKIP_1) | instid1(VALU_DEP_1)
	v_div_fixup_f32 v1, v2, v1, v13
	s_waitcnt lgkmcnt(0)
	v_add_f32_e32 v1, s0, v1
	s_delay_alu instid0(VALU_DEP_1) | instskip(SKIP_1) | instid1(VALU_DEP_2)
	v_mul_f32_e32 v2, 0x4b800000, v1
	v_cmp_gt_f32_e32 vcc_lo, 0x800000, v1
	v_cndmask_b32_e32 v1, v1, v2, vcc_lo
	s_delay_alu instid0(VALU_DEP_1) | instskip(SKIP_2) | instid1(VALU_DEP_1)
	v_rsq_f32_e32 v1, v1
	s_waitcnt_depctr 0xfff
	v_mul_f32_e32 v2, 0x45800000, v1
	v_dual_cndmask_b32 v1, v1, v2 :: v_dual_mov_b32 v2, 0
	ds_store_b32 v2, v1 offset:128
.LBB17_12:
	s_or_b32 exec_lo, exec_lo, s12
	s_waitcnt lgkmcnt(0)
	s_barrier
	buffer_gl0_inv
	s_and_saveexec_b32 s0, s2
	s_cbranch_execz .LBB17_25
; %bb.13:
	s_load_b32 s0, s[6:7], 0x0
	s_mov_b32 s2, 0
	s_mov_b32 s6, 0x43600000
	s_waitcnt lgkmcnt(0)
	v_div_scale_f32 v1, null, s0, s0, 1.0
	v_div_scale_f32 v4, vcc_lo, 1.0, s0, 1.0
	s_delay_alu instid0(VALU_DEP_2) | instskip(SKIP_2) | instid1(VALU_DEP_1)
	v_rcp_f32_e32 v2, v1
	s_waitcnt_depctr 0xfff
	v_fma_f32 v3, -v1, v2, 1.0
	v_dual_fmac_f32 v2, v3, v2 :: v_dual_mov_b32 v3, 0
	s_delay_alu instid0(VALU_DEP_1) | instskip(NEXT) | instid1(VALU_DEP_1)
	v_mul_f32_e32 v5, v4, v2
	v_fma_f32 v7, -v1, v5, v4
	s_delay_alu instid0(VALU_DEP_1) | instskip(SKIP_2) | instid1(VALU_DEP_1)
	v_fmac_f32_e32 v5, v7, v2
	ds_load_b32 v7, v3 offset:128
	v_fma_f32 v1, -v1, v5, v4
	v_div_fmas_f32 v1, v1, v2, v5
	s_delay_alu instid0(VALU_DEP_1)
	v_div_fixup_f32 v8, v1, s0, 1.0
	s_branch .LBB17_18
.LBB17_14:                              ;   in Loop: Header=BB17_18 Depth=1
	s_or_b32 exec_lo, exec_lo, s0
	s_delay_alu instid0(VALU_DEP_2) | instskip(NEXT) | instid1(VALU_DEP_2)
	v_lshrrev_b64 v[4:5], 20, v[4:5]
	v_cmp_gt_i32_e32 vcc_lo, 16, v9
	v_and_b32_e32 v1, 0x80, v1
	v_min_i32_e32 v10, 15, v9
	v_cmp_eq_u32_e64 s0, 0, v9
	v_dual_cndmask_b32 v4, 7, v4 :: v_dual_cndmask_b32 v5, 0, v5
	s_delay_alu instid0(VALU_DEP_3) | instskip(NEXT) | instid1(VALU_DEP_2)
	v_lshl_or_b32 v1, v10, 3, v1
	v_cmp_eq_u64_e32 vcc_lo, 0, v[4:5]
	s_delay_alu instid0(VALU_DEP_2)
	v_and_or_b32 v1, v4, 7, v1
	s_and_b32 s0, s0, vcc_lo
	s_delay_alu instid0(VALU_DEP_1) | instid1(SALU_CYCLE_1)
	v_cndmask_b32_e64 v4, v1, 0, s0
.LBB17_15:                              ;   in Loop: Header=BB17_18 Depth=1
	s_or_b32 exec_lo, exec_lo, s13
.LBB17_16:                              ;   in Loop: Header=BB17_18 Depth=1
	s_and_not1_saveexec_b32 s0, s12
	s_delay_alu instid0(SALU_CYCLE_1)
	s_or_b32 exec_lo, exec_lo, s0
.LBB17_17:                              ;   in Loop: Header=BB17_18 Depth=1
	s_and_not1_saveexec_b32 s0, s7
	s_delay_alu instid0(SALU_CYCLE_1) | instskip(SKIP_2) | instid1(VALU_DEP_1)
	s_or_b32 exec_lo, exec_lo, s0
	v_add_nc_u32_e32 v0, v0, v6
	v_add_co_u32 v1, s0, s10, v2
	v_add_co_ci_u32_e64 v2, null, s11, 0, s0
	s_delay_alu instid0(VALU_DEP_3) | instskip(SKIP_2) | instid1(SALU_CYCLE_1)
	v_cmp_le_i32_e32 vcc_lo, s3, v0
	global_store_b8 v[1:2], v4, off
	s_or_b32 s2, vcc_lo, s2
	s_and_not1_b32 exec_lo, exec_lo, s2
	s_cbranch_execz .LBB17_25
.LBB17_18:                              ; =>This Inner Loop Header: Depth=1
	v_add_nc_u32_e32 v2, s14, v0
	v_ashrrev_i32_e32 v1, 31, v0
	s_mov_b32 s0, exec_lo
	v_mov_b32_e32 v10, v3
	s_delay_alu instid0(VALU_DEP_3) | instskip(NEXT) | instid1(VALU_DEP_1)
	v_lshlrev_b64 v[4:5], 1, v[2:3]
	v_add_co_u32 v4, vcc_lo, s8, v4
	s_delay_alu instid0(VALU_DEP_2) | instskip(SKIP_2) | instid1(VALU_DEP_1)
	v_add_co_ci_u32_e32 v5, vcc_lo, s9, v5, vcc_lo
	global_load_u16 v9, v[4:5], off
	v_lshlrev_b64 v[4:5], 1, v[0:1]
	v_add_co_u32 v4, vcc_lo, s4, v4
	s_delay_alu instid0(VALU_DEP_2) | instskip(SKIP_4) | instid1(VALU_DEP_1)
	v_add_co_ci_u32_e32 v5, vcc_lo, s5, v5, vcc_lo
	global_load_u16 v1, v[4:5], off
	s_waitcnt vmcnt(1)
	v_lshlrev_b32_e32 v4, 16, v9
	s_waitcnt lgkmcnt(0)
	v_mul_f32_e32 v4, v7, v4
	s_delay_alu instid0(VALU_DEP_1) | instskip(SKIP_2) | instid1(VALU_DEP_2)
	v_bfe_u32 v5, v4, 16, 1
	s_waitcnt vmcnt(0)
	v_lshlrev_b32_e32 v1, 16, v1
	v_add3_u32 v5, v4, v5, 0x7fff
	s_delay_alu instid0(VALU_DEP_1) | instskip(SKIP_1) | instid1(VALU_DEP_2)
	v_and_b32_e32 v5, 0xffff0000, v5
	v_cmp_o_f32_e32 vcc_lo, v4, v4
	v_cndmask_b32_e32 v4, 0x7fc00000, v5, vcc_lo
	s_delay_alu instid0(VALU_DEP_1) | instskip(NEXT) | instid1(VALU_DEP_1)
	v_mul_f32_e32 v1, v4, v1
	v_bfe_u32 v4, v1, 16, 1
	v_cmp_o_f32_e32 vcc_lo, v1, v1
	s_delay_alu instid0(VALU_DEP_2) | instskip(NEXT) | instid1(VALU_DEP_1)
	v_add3_u32 v4, v1, v4, 0x7fff
	v_and_b32_e32 v4, 0xffff0000, v4
	s_delay_alu instid0(VALU_DEP_1) | instskip(NEXT) | instid1(VALU_DEP_1)
	v_cndmask_b32_e32 v1, 0x7fc00000, v4, vcc_lo
	v_mul_f32_e32 v1, v8, v1
	s_delay_alu instid0(VALU_DEP_1) | instskip(NEXT) | instid1(VALU_DEP_1)
	v_minmax_f32 v5, v1, s6, 0xc3600000
	v_lshrrev_b32_e32 v1, 24, v5
	v_and_b32_e32 v9, 0x7f800000, v5
	s_delay_alu instid0(VALU_DEP_2) | instskip(NEXT) | instid1(VALU_DEP_2)
	v_or_b32_e32 v4, 0x7f, v1
	v_cmpx_ne_u64_e32 0x7f800000, v[9:10]
	s_xor_b32 s7, exec_lo, s0
	s_cbranch_execz .LBB17_17
; %bb.19:                               ;   in Loop: Header=BB17_18 Depth=1
	v_dual_mov_b32 v10, v3 :: v_dual_and_b32 v9, 0x7fffffff, v5
	s_mov_b32 s0, exec_lo
	s_delay_alu instid0(VALU_DEP_1)
	v_cmpx_gt_u64_e32 0x43700001, v[9:10]
	s_xor_b32 s12, exec_lo, s0
	s_cbranch_execz .LBB17_16
; %bb.20:                               ;   in Loop: Header=BB17_18 Depth=1
	v_mov_b32_e32 v4, 0
	s_mov_b32 s13, exec_lo
	v_cmpx_ne_u32_e32 0, v5
	s_cbranch_execz .LBB17_15
; %bb.21:                               ;   in Loop: Header=BB17_18 Depth=1
	v_bfe_u32 v11, v5, 23, 8
	v_and_b32_e32 v9, 0x7fffff, v5
	v_mov_b32_e32 v5, v3
	s_delay_alu instid0(VALU_DEP_3) | instskip(SKIP_2) | instid1(VALU_DEP_3)
	v_sub_nc_u32_e64 v4, 0x78, v11 clamp
	v_cmp_eq_u32_e32 vcc_lo, 0, v11
	v_add_nc_u32_e32 v11, 0xffffff89, v11
	v_cndmask_b32_e64 v16, v4, 0x77, vcc_lo
	v_or_b32_e32 v4, 0x800000, v9
	s_delay_alu instid0(VALU_DEP_2) | instskip(NEXT) | instid1(VALU_DEP_2)
	v_add_nc_u32_e32 v10, 20, v16
	v_cndmask_b32_e32 v4, v4, v9, vcc_lo
	v_add_nc_u32_e32 v14, 19, v16
	s_delay_alu instid0(VALU_DEP_3) | instskip(NEXT) | instid1(VALU_DEP_3)
	v_lshlrev_b64 v[9:10], v10, -1
	v_lshrrev_b64 v[12:13], v16, v[4:5]
	s_delay_alu instid0(VALU_DEP_3) | instskip(SKIP_1) | instid1(VALU_DEP_4)
	v_lshlrev_b64 v[14:15], v14, 1
	v_mov_b32_e32 v10, v3
	v_not_b32_e32 v17, v9
	s_delay_alu instid0(VALU_DEP_4) | instskip(NEXT) | instid1(VALU_DEP_2)
	v_and_b32_e32 v9, 0x100000, v12
	v_and_b32_e32 v4, v4, v17
	s_delay_alu instid0(VALU_DEP_2) | instskip(NEXT) | instid1(VALU_DEP_2)
	v_cmp_eq_u64_e64 s0, 0, v[9:10]
	v_cmp_eq_u64_e64 s1, v[4:5], v[14:15]
	v_cndmask_b32_e64 v4, v11, 0xffffff8a, vcc_lo
	v_lshrrev_b32_e32 v5, 23, v12
	s_delay_alu instid0(VALU_DEP_3) | instskip(NEXT) | instid1(VALU_DEP_1)
	s_and_b32 vcc_lo, s0, s1
	v_add3_u32 v10, v4, v16, v5
	v_subrev_co_ci_u32_e32 v9, vcc_lo, 0, v12, vcc_lo
	s_mov_b32 s0, exec_lo
	s_delay_alu instid0(VALU_DEP_2) | instskip(NEXT) | instid1(VALU_DEP_2)
	v_add_nc_u32_e32 v11, -1, v10
	v_and_b32_e32 v4, 0xfffff, v9
                                        ; implicit-def: $vgpr9
	s_delay_alu instid0(VALU_DEP_1) | instskip(SKIP_1) | instid1(VALU_DEP_4)
	v_add_co_u32 v4, vcc_lo, v4, v12
	v_add_co_ci_u32_e32 v5, vcc_lo, 0, v13, vcc_lo
	v_cmpx_ne_u32_e32 0, v11
	s_xor_b32 s0, exec_lo, s0
; %bb.22:                               ;   in Loop: Header=BB17_18 Depth=1
	s_delay_alu instid0(VALU_DEP_3) | instskip(SKIP_1) | instid1(VALU_DEP_2)
	v_dual_mov_b32 v13, v3 :: v_dual_and_b32 v12, 0x1000000, v4
	v_bfe_u32 v9, v4, 24, 1
	v_cmp_eq_u64_e32 vcc_lo, 0, v[12:13]
	s_delay_alu instid0(VALU_DEP_2)
	v_lshrrev_b64 v[4:5], v9, v[4:5]
	v_cndmask_b32_e32 v9, v10, v11, vcc_lo
; %bb.23:                               ;   in Loop: Header=BB17_18 Depth=1
	s_and_not1_saveexec_b32 s0, s0
	s_cbranch_execz .LBB17_14
; %bb.24:                               ;   in Loop: Header=BB17_18 Depth=1
	s_delay_alu instid0(VALU_DEP_2)
	v_bfe_u32 v9, v4, 23, 1
	s_branch .LBB17_14
.LBB17_25:
	s_nop 0
	s_sendmsg sendmsg(MSG_DEALLOC_VGPRS)
	s_endpgm
	.section	.rodata,"a",@progbits
	.p2align	6, 0x0
	.amdhsa_kernel _ZN4vllm42fused_add_rms_norm_static_fp8_quant_kernelIN3c108BFloat16ELi0ENS1_15Float8_e4m3fnuzEEENSt9enable_ifIXooeqT0_Li0Entsr12_typeConvertIT_EE6existsEvE4typeEPT1_PS5_iSA_PKS5_PKffii
		.amdhsa_group_segment_fixed_size 132
		.amdhsa_private_segment_fixed_size 0
		.amdhsa_kernarg_size 320
		.amdhsa_user_sgpr_count 15
		.amdhsa_user_sgpr_dispatch_ptr 0
		.amdhsa_user_sgpr_queue_ptr 0
		.amdhsa_user_sgpr_kernarg_segment_ptr 1
		.amdhsa_user_sgpr_dispatch_id 0
		.amdhsa_user_sgpr_private_segment_size 0
		.amdhsa_wavefront_size32 1
		.amdhsa_uses_dynamic_stack 0
		.amdhsa_enable_private_segment 0
		.amdhsa_system_sgpr_workgroup_id_x 1
		.amdhsa_system_sgpr_workgroup_id_y 0
		.amdhsa_system_sgpr_workgroup_id_z 0
		.amdhsa_system_sgpr_workgroup_info 0
		.amdhsa_system_vgpr_workitem_id 0
		.amdhsa_next_free_vgpr 18
		.amdhsa_next_free_sgpr 19
		.amdhsa_reserve_vcc 1
		.amdhsa_float_round_mode_32 0
		.amdhsa_float_round_mode_16_64 0
		.amdhsa_float_denorm_mode_32 3
		.amdhsa_float_denorm_mode_16_64 3
		.amdhsa_dx10_clamp 1
		.amdhsa_ieee_mode 1
		.amdhsa_fp16_overflow 0
		.amdhsa_workgroup_processor_mode 1
		.amdhsa_memory_ordered 1
		.amdhsa_forward_progress 0
		.amdhsa_shared_vgpr_count 0
		.amdhsa_exception_fp_ieee_invalid_op 0
		.amdhsa_exception_fp_denorm_src 0
		.amdhsa_exception_fp_ieee_div_zero 0
		.amdhsa_exception_fp_ieee_overflow 0
		.amdhsa_exception_fp_ieee_underflow 0
		.amdhsa_exception_fp_ieee_inexact 0
		.amdhsa_exception_int_div_zero 0
	.end_amdhsa_kernel
	.section	.text._ZN4vllm42fused_add_rms_norm_static_fp8_quant_kernelIN3c108BFloat16ELi0ENS1_15Float8_e4m3fnuzEEENSt9enable_ifIXooeqT0_Li0Entsr12_typeConvertIT_EE6existsEvE4typeEPT1_PS5_iSA_PKS5_PKffii,"axG",@progbits,_ZN4vllm42fused_add_rms_norm_static_fp8_quant_kernelIN3c108BFloat16ELi0ENS1_15Float8_e4m3fnuzEEENSt9enable_ifIXooeqT0_Li0Entsr12_typeConvertIT_EE6existsEvE4typeEPT1_PS5_iSA_PKS5_PKffii,comdat
.Lfunc_end17:
	.size	_ZN4vllm42fused_add_rms_norm_static_fp8_quant_kernelIN3c108BFloat16ELi0ENS1_15Float8_e4m3fnuzEEENSt9enable_ifIXooeqT0_Li0Entsr12_typeConvertIT_EE6existsEvE4typeEPT1_PS5_iSA_PKS5_PKffii, .Lfunc_end17-_ZN4vllm42fused_add_rms_norm_static_fp8_quant_kernelIN3c108BFloat16ELi0ENS1_15Float8_e4m3fnuzEEENSt9enable_ifIXooeqT0_Li0Entsr12_typeConvertIT_EE6existsEvE4typeEPT1_PS5_iSA_PKS5_PKffii
                                        ; -- End function
	.section	.AMDGPU.csdata,"",@progbits
; Kernel info:
; codeLenInByte = 2088
; NumSgprs: 21
; NumVgprs: 18
; ScratchSize: 0
; MemoryBound: 0
; FloatMode: 240
; IeeeMode: 1
; LDSByteSize: 132 bytes/workgroup (compile time only)
; SGPRBlocks: 2
; VGPRBlocks: 2
; NumSGPRsForWavesPerEU: 21
; NumVGPRsForWavesPerEU: 18
; Occupancy: 16
; WaveLimiterHint : 0
; COMPUTE_PGM_RSRC2:SCRATCH_EN: 0
; COMPUTE_PGM_RSRC2:USER_SGPR: 15
; COMPUTE_PGM_RSRC2:TRAP_HANDLER: 0
; COMPUTE_PGM_RSRC2:TGID_X_EN: 1
; COMPUTE_PGM_RSRC2:TGID_Y_EN: 0
; COMPUTE_PGM_RSRC2:TGID_Z_EN: 0
; COMPUTE_PGM_RSRC2:TIDIG_COMP_CNT: 0
	.text
	.p2alignl 7, 3214868480
	.fill 96, 4, 3214868480
	.type	__hip_cuid_a41d43c28447fe55,@object ; @__hip_cuid_a41d43c28447fe55
	.section	.bss,"aw",@nobits
	.globl	__hip_cuid_a41d43c28447fe55
__hip_cuid_a41d43c28447fe55:
	.byte	0                               ; 0x0
	.size	__hip_cuid_a41d43c28447fe55, 1

	.ident	"AMD clang version 19.0.0git (https://github.com/RadeonOpenCompute/llvm-project roc-6.4.0 25133 c7fe45cf4b819c5991fe208aaa96edf142730f1d)"
	.section	".note.GNU-stack","",@progbits
	.addrsig
	.addrsig_sym __hip_cuid_a41d43c28447fe55
	.amdgpu_metadata
---
amdhsa.kernels:
  - .args:
      - .actual_access:  write_only
        .address_space:  global
        .offset:         0
        .size:           8
        .value_kind:     global_buffer
      - .actual_access:  read_only
        .address_space:  global
        .offset:         8
        .size:           8
        .value_kind:     global_buffer
      - .offset:         16
        .size:           4
        .value_kind:     by_value
      - .actual_access:  read_only
        .address_space:  global
        .offset:         24
        .size:           8
        .value_kind:     global_buffer
      - .actual_access:  read_only
        .address_space:  global
        .offset:         32
        .size:           8
        .value_kind:     global_buffer
      - .offset:         40
        .size:           4
        .value_kind:     by_value
      - .offset:         44
        .size:           4
        .value_kind:     by_value
      - .offset:         48
        .size:           4
        .value_kind:     by_value
      - .offset:         56
        .size:           4
        .value_kind:     hidden_block_count_x
      - .offset:         60
        .size:           4
        .value_kind:     hidden_block_count_y
      - .offset:         64
        .size:           4
        .value_kind:     hidden_block_count_z
      - .offset:         68
        .size:           2
        .value_kind:     hidden_group_size_x
      - .offset:         70
        .size:           2
        .value_kind:     hidden_group_size_y
      - .offset:         72
        .size:           2
        .value_kind:     hidden_group_size_z
      - .offset:         74
        .size:           2
        .value_kind:     hidden_remainder_x
      - .offset:         76
        .size:           2
        .value_kind:     hidden_remainder_y
      - .offset:         78
        .size:           2
        .value_kind:     hidden_remainder_z
      - .offset:         96
        .size:           8
        .value_kind:     hidden_global_offset_x
      - .offset:         104
        .size:           8
        .value_kind:     hidden_global_offset_y
      - .offset:         112
        .size:           8
        .value_kind:     hidden_global_offset_z
      - .offset:         120
        .size:           2
        .value_kind:     hidden_grid_dims
    .group_segment_fixed_size: 132
    .kernarg_segment_align: 8
    .kernarg_segment_size: 312
    .language:       OpenCL C
    .language_version:
      - 2
      - 0
    .max_flat_workgroup_size: 1024
    .name:           _ZN4vllm32rms_norm_static_fp8_quant_kernelIfN3c1013Float8_e4m3fnEEEvPT0_PKT_iS7_PKffii
    .private_segment_fixed_size: 0
    .sgpr_count:     19
    .sgpr_spill_count: 0
    .symbol:         _ZN4vllm32rms_norm_static_fp8_quant_kernelIfN3c1013Float8_e4m3fnEEEvPT0_PKT_iS7_PKffii.kd
    .uniform_work_group_size: 1
    .uses_dynamic_stack: false
    .vgpr_count:     16
    .vgpr_spill_count: 0
    .wavefront_size: 32
    .workgroup_processor_mode: 1
  - .args:
      - .actual_access:  write_only
        .address_space:  global
        .offset:         0
        .size:           8
        .value_kind:     global_buffer
      - .actual_access:  read_only
        .address_space:  global
        .offset:         8
        .size:           8
        .value_kind:     global_buffer
      - .offset:         16
        .size:           4
        .value_kind:     by_value
      - .actual_access:  read_only
        .address_space:  global
        .offset:         24
        .size:           8
        .value_kind:     global_buffer
      - .actual_access:  read_only
        .address_space:  global
        .offset:         32
        .size:           8
        .value_kind:     global_buffer
      - .offset:         40
        .size:           4
        .value_kind:     by_value
      - .offset:         44
        .size:           4
        .value_kind:     by_value
      - .offset:         48
        .size:           4
        .value_kind:     by_value
      - .offset:         56
        .size:           4
        .value_kind:     hidden_block_count_x
      - .offset:         60
        .size:           4
        .value_kind:     hidden_block_count_y
      - .offset:         64
        .size:           4
        .value_kind:     hidden_block_count_z
      - .offset:         68
        .size:           2
        .value_kind:     hidden_group_size_x
      - .offset:         70
        .size:           2
        .value_kind:     hidden_group_size_y
      - .offset:         72
        .size:           2
        .value_kind:     hidden_group_size_z
      - .offset:         74
        .size:           2
        .value_kind:     hidden_remainder_x
      - .offset:         76
        .size:           2
        .value_kind:     hidden_remainder_y
      - .offset:         78
        .size:           2
        .value_kind:     hidden_remainder_z
      - .offset:         96
        .size:           8
        .value_kind:     hidden_global_offset_x
      - .offset:         104
        .size:           8
        .value_kind:     hidden_global_offset_y
      - .offset:         112
        .size:           8
        .value_kind:     hidden_global_offset_z
      - .offset:         120
        .size:           2
        .value_kind:     hidden_grid_dims
    .group_segment_fixed_size: 132
    .kernarg_segment_align: 8
    .kernarg_segment_size: 312
    .language:       OpenCL C
    .language_version:
      - 2
      - 0
    .max_flat_workgroup_size: 1024
    .name:           _ZN4vllm32rms_norm_static_fp8_quant_kernelIfN3c1015Float8_e4m3fnuzEEEvPT0_PKT_iS7_PKffii
    .private_segment_fixed_size: 0
    .sgpr_count:     19
    .sgpr_spill_count: 0
    .symbol:         _ZN4vllm32rms_norm_static_fp8_quant_kernelIfN3c1015Float8_e4m3fnuzEEEvPT0_PKT_iS7_PKffii.kd
    .uniform_work_group_size: 1
    .uses_dynamic_stack: false
    .vgpr_count:     16
    .vgpr_spill_count: 0
    .wavefront_size: 32
    .workgroup_processor_mode: 1
  - .args:
      - .actual_access:  write_only
        .address_space:  global
        .offset:         0
        .size:           8
        .value_kind:     global_buffer
      - .actual_access:  read_only
        .address_space:  global
        .offset:         8
        .size:           8
        .value_kind:     global_buffer
      - .offset:         16
        .size:           4
        .value_kind:     by_value
      - .actual_access:  read_only
        .address_space:  global
        .offset:         24
        .size:           8
        .value_kind:     global_buffer
      - .actual_access:  read_only
        .address_space:  global
        .offset:         32
        .size:           8
        .value_kind:     global_buffer
      - .offset:         40
        .size:           4
        .value_kind:     by_value
      - .offset:         44
        .size:           4
        .value_kind:     by_value
      - .offset:         48
        .size:           4
        .value_kind:     by_value
      - .offset:         56
        .size:           4
        .value_kind:     hidden_block_count_x
      - .offset:         60
        .size:           4
        .value_kind:     hidden_block_count_y
      - .offset:         64
        .size:           4
        .value_kind:     hidden_block_count_z
      - .offset:         68
        .size:           2
        .value_kind:     hidden_group_size_x
      - .offset:         70
        .size:           2
        .value_kind:     hidden_group_size_y
      - .offset:         72
        .size:           2
        .value_kind:     hidden_group_size_z
      - .offset:         74
        .size:           2
        .value_kind:     hidden_remainder_x
      - .offset:         76
        .size:           2
        .value_kind:     hidden_remainder_y
      - .offset:         78
        .size:           2
        .value_kind:     hidden_remainder_z
      - .offset:         96
        .size:           8
        .value_kind:     hidden_global_offset_x
      - .offset:         104
        .size:           8
        .value_kind:     hidden_global_offset_y
      - .offset:         112
        .size:           8
        .value_kind:     hidden_global_offset_z
      - .offset:         120
        .size:           2
        .value_kind:     hidden_grid_dims
    .group_segment_fixed_size: 132
    .kernarg_segment_align: 8
    .kernarg_segment_size: 312
    .language:       OpenCL C
    .language_version:
      - 2
      - 0
    .max_flat_workgroup_size: 1024
    .name:           _ZN4vllm32rms_norm_static_fp8_quant_kernelIN3c104HalfENS1_13Float8_e4m3fnEEEvPT0_PKT_iS8_PKffii
    .private_segment_fixed_size: 0
    .sgpr_count:     19
    .sgpr_spill_count: 0
    .symbol:         _ZN4vllm32rms_norm_static_fp8_quant_kernelIN3c104HalfENS1_13Float8_e4m3fnEEEvPT0_PKT_iS8_PKffii.kd
    .uniform_work_group_size: 1
    .uses_dynamic_stack: false
    .vgpr_count:     16
    .vgpr_spill_count: 0
    .wavefront_size: 32
    .workgroup_processor_mode: 1
  - .args:
      - .actual_access:  write_only
        .address_space:  global
        .offset:         0
        .size:           8
        .value_kind:     global_buffer
      - .actual_access:  read_only
        .address_space:  global
        .offset:         8
        .size:           8
        .value_kind:     global_buffer
      - .offset:         16
        .size:           4
        .value_kind:     by_value
      - .actual_access:  read_only
        .address_space:  global
        .offset:         24
        .size:           8
        .value_kind:     global_buffer
      - .actual_access:  read_only
        .address_space:  global
        .offset:         32
        .size:           8
        .value_kind:     global_buffer
      - .offset:         40
        .size:           4
        .value_kind:     by_value
      - .offset:         44
        .size:           4
        .value_kind:     by_value
      - .offset:         48
        .size:           4
        .value_kind:     by_value
      - .offset:         56
        .size:           4
        .value_kind:     hidden_block_count_x
      - .offset:         60
        .size:           4
        .value_kind:     hidden_block_count_y
      - .offset:         64
        .size:           4
        .value_kind:     hidden_block_count_z
      - .offset:         68
        .size:           2
        .value_kind:     hidden_group_size_x
      - .offset:         70
        .size:           2
        .value_kind:     hidden_group_size_y
      - .offset:         72
        .size:           2
        .value_kind:     hidden_group_size_z
      - .offset:         74
        .size:           2
        .value_kind:     hidden_remainder_x
      - .offset:         76
        .size:           2
        .value_kind:     hidden_remainder_y
      - .offset:         78
        .size:           2
        .value_kind:     hidden_remainder_z
      - .offset:         96
        .size:           8
        .value_kind:     hidden_global_offset_x
      - .offset:         104
        .size:           8
        .value_kind:     hidden_global_offset_y
      - .offset:         112
        .size:           8
        .value_kind:     hidden_global_offset_z
      - .offset:         120
        .size:           2
        .value_kind:     hidden_grid_dims
    .group_segment_fixed_size: 132
    .kernarg_segment_align: 8
    .kernarg_segment_size: 312
    .language:       OpenCL C
    .language_version:
      - 2
      - 0
    .max_flat_workgroup_size: 1024
    .name:           _ZN4vllm32rms_norm_static_fp8_quant_kernelIN3c104HalfENS1_15Float8_e4m3fnuzEEEvPT0_PKT_iS8_PKffii
    .private_segment_fixed_size: 0
    .sgpr_count:     19
    .sgpr_spill_count: 0
    .symbol:         _ZN4vllm32rms_norm_static_fp8_quant_kernelIN3c104HalfENS1_15Float8_e4m3fnuzEEEvPT0_PKT_iS8_PKffii.kd
    .uniform_work_group_size: 1
    .uses_dynamic_stack: false
    .vgpr_count:     16
    .vgpr_spill_count: 0
    .wavefront_size: 32
    .workgroup_processor_mode: 1
  - .args:
      - .actual_access:  write_only
        .address_space:  global
        .offset:         0
        .size:           8
        .value_kind:     global_buffer
      - .actual_access:  read_only
        .address_space:  global
        .offset:         8
        .size:           8
        .value_kind:     global_buffer
      - .offset:         16
        .size:           4
        .value_kind:     by_value
      - .actual_access:  read_only
        .address_space:  global
        .offset:         24
        .size:           8
        .value_kind:     global_buffer
      - .actual_access:  read_only
        .address_space:  global
        .offset:         32
        .size:           8
        .value_kind:     global_buffer
      - .offset:         40
        .size:           4
        .value_kind:     by_value
      - .offset:         44
        .size:           4
        .value_kind:     by_value
      - .offset:         48
        .size:           4
        .value_kind:     by_value
      - .offset:         56
        .size:           4
        .value_kind:     hidden_block_count_x
      - .offset:         60
        .size:           4
        .value_kind:     hidden_block_count_y
      - .offset:         64
        .size:           4
        .value_kind:     hidden_block_count_z
      - .offset:         68
        .size:           2
        .value_kind:     hidden_group_size_x
      - .offset:         70
        .size:           2
        .value_kind:     hidden_group_size_y
      - .offset:         72
        .size:           2
        .value_kind:     hidden_group_size_z
      - .offset:         74
        .size:           2
        .value_kind:     hidden_remainder_x
      - .offset:         76
        .size:           2
        .value_kind:     hidden_remainder_y
      - .offset:         78
        .size:           2
        .value_kind:     hidden_remainder_z
      - .offset:         96
        .size:           8
        .value_kind:     hidden_global_offset_x
      - .offset:         104
        .size:           8
        .value_kind:     hidden_global_offset_y
      - .offset:         112
        .size:           8
        .value_kind:     hidden_global_offset_z
      - .offset:         120
        .size:           2
        .value_kind:     hidden_grid_dims
    .group_segment_fixed_size: 132
    .kernarg_segment_align: 8
    .kernarg_segment_size: 312
    .language:       OpenCL C
    .language_version:
      - 2
      - 0
    .max_flat_workgroup_size: 1024
    .name:           _ZN4vllm32rms_norm_static_fp8_quant_kernelIN3c108BFloat16ENS1_13Float8_e4m3fnEEEvPT0_PKT_iS8_PKffii
    .private_segment_fixed_size: 0
    .sgpr_count:     19
    .sgpr_spill_count: 0
    .symbol:         _ZN4vllm32rms_norm_static_fp8_quant_kernelIN3c108BFloat16ENS1_13Float8_e4m3fnEEEvPT0_PKT_iS8_PKffii.kd
    .uniform_work_group_size: 1
    .uses_dynamic_stack: false
    .vgpr_count:     16
    .vgpr_spill_count: 0
    .wavefront_size: 32
    .workgroup_processor_mode: 1
  - .args:
      - .actual_access:  write_only
        .address_space:  global
        .offset:         0
        .size:           8
        .value_kind:     global_buffer
      - .actual_access:  read_only
        .address_space:  global
        .offset:         8
        .size:           8
        .value_kind:     global_buffer
      - .offset:         16
        .size:           4
        .value_kind:     by_value
      - .actual_access:  read_only
        .address_space:  global
        .offset:         24
        .size:           8
        .value_kind:     global_buffer
      - .actual_access:  read_only
        .address_space:  global
        .offset:         32
        .size:           8
        .value_kind:     global_buffer
      - .offset:         40
        .size:           4
        .value_kind:     by_value
      - .offset:         44
        .size:           4
        .value_kind:     by_value
      - .offset:         48
        .size:           4
        .value_kind:     by_value
      - .offset:         56
        .size:           4
        .value_kind:     hidden_block_count_x
      - .offset:         60
        .size:           4
        .value_kind:     hidden_block_count_y
      - .offset:         64
        .size:           4
        .value_kind:     hidden_block_count_z
      - .offset:         68
        .size:           2
        .value_kind:     hidden_group_size_x
      - .offset:         70
        .size:           2
        .value_kind:     hidden_group_size_y
      - .offset:         72
        .size:           2
        .value_kind:     hidden_group_size_z
      - .offset:         74
        .size:           2
        .value_kind:     hidden_remainder_x
      - .offset:         76
        .size:           2
        .value_kind:     hidden_remainder_y
      - .offset:         78
        .size:           2
        .value_kind:     hidden_remainder_z
      - .offset:         96
        .size:           8
        .value_kind:     hidden_global_offset_x
      - .offset:         104
        .size:           8
        .value_kind:     hidden_global_offset_y
      - .offset:         112
        .size:           8
        .value_kind:     hidden_global_offset_z
      - .offset:         120
        .size:           2
        .value_kind:     hidden_grid_dims
    .group_segment_fixed_size: 132
    .kernarg_segment_align: 8
    .kernarg_segment_size: 312
    .language:       OpenCL C
    .language_version:
      - 2
      - 0
    .max_flat_workgroup_size: 1024
    .name:           _ZN4vllm32rms_norm_static_fp8_quant_kernelIN3c108BFloat16ENS1_15Float8_e4m3fnuzEEEvPT0_PKT_iS8_PKffii
    .private_segment_fixed_size: 0
    .sgpr_count:     19
    .sgpr_spill_count: 0
    .symbol:         _ZN4vllm32rms_norm_static_fp8_quant_kernelIN3c108BFloat16ENS1_15Float8_e4m3fnuzEEEvPT0_PKT_iS8_PKffii.kd
    .uniform_work_group_size: 1
    .uses_dynamic_stack: false
    .vgpr_count:     16
    .vgpr_spill_count: 0
    .wavefront_size: 32
    .workgroup_processor_mode: 1
  - .args:
      - .actual_access:  write_only
        .address_space:  global
        .offset:         0
        .size:           8
        .value_kind:     global_buffer
      - .actual_access:  read_only
        .address_space:  global
        .offset:         8
        .size:           8
        .value_kind:     global_buffer
      - .offset:         16
        .size:           4
        .value_kind:     by_value
      - .address_space:  global
        .offset:         24
        .size:           8
        .value_kind:     global_buffer
      - .actual_access:  read_only
        .address_space:  global
        .offset:         32
        .size:           8
        .value_kind:     global_buffer
      - .actual_access:  read_only
        .address_space:  global
        .offset:         40
        .size:           8
        .value_kind:     global_buffer
      - .offset:         48
        .size:           4
        .value_kind:     by_value
      - .offset:         52
        .size:           4
        .value_kind:     by_value
      - .offset:         56
        .size:           4
        .value_kind:     by_value
      - .offset:         64
        .size:           4
        .value_kind:     hidden_block_count_x
      - .offset:         68
        .size:           4
        .value_kind:     hidden_block_count_y
      - .offset:         72
        .size:           4
        .value_kind:     hidden_block_count_z
      - .offset:         76
        .size:           2
        .value_kind:     hidden_group_size_x
      - .offset:         78
        .size:           2
        .value_kind:     hidden_group_size_y
      - .offset:         80
        .size:           2
        .value_kind:     hidden_group_size_z
      - .offset:         82
        .size:           2
        .value_kind:     hidden_remainder_x
      - .offset:         84
        .size:           2
        .value_kind:     hidden_remainder_y
      - .offset:         86
        .size:           2
        .value_kind:     hidden_remainder_z
      - .offset:         104
        .size:           8
        .value_kind:     hidden_global_offset_x
      - .offset:         112
        .size:           8
        .value_kind:     hidden_global_offset_y
      - .offset:         120
        .size:           8
        .value_kind:     hidden_global_offset_z
      - .offset:         128
        .size:           2
        .value_kind:     hidden_grid_dims
    .group_segment_fixed_size: 132
    .kernarg_segment_align: 8
    .kernarg_segment_size: 320
    .language:       OpenCL C
    .language_version:
      - 2
      - 0
    .max_flat_workgroup_size: 1024
    .name:           _ZN4vllm42fused_add_rms_norm_static_fp8_quant_kernelIfLi8EN3c1013Float8_e4m3fnEEENSt9enable_ifIXooeqT0_Li0Entsr12_typeConvertIT_EE6existsEvE4typeEPT1_PS4_iS9_PKS4_PKffii
    .private_segment_fixed_size: 0
    .sgpr_count:     21
    .sgpr_spill_count: 0
    .symbol:         _ZN4vllm42fused_add_rms_norm_static_fp8_quant_kernelIfLi8EN3c1013Float8_e4m3fnEEENSt9enable_ifIXooeqT0_Li0Entsr12_typeConvertIT_EE6existsEvE4typeEPT1_PS4_iS9_PKS4_PKffii.kd
    .uniform_work_group_size: 1
    .uses_dynamic_stack: false
    .vgpr_count:     18
    .vgpr_spill_count: 0
    .wavefront_size: 32
    .workgroup_processor_mode: 1
  - .args:
      - .actual_access:  write_only
        .address_space:  global
        .offset:         0
        .size:           8
        .value_kind:     global_buffer
      - .actual_access:  read_only
        .address_space:  global
        .offset:         8
        .size:           8
        .value_kind:     global_buffer
      - .offset:         16
        .size:           4
        .value_kind:     by_value
      - .address_space:  global
        .offset:         24
        .size:           8
        .value_kind:     global_buffer
      - .actual_access:  read_only
        .address_space:  global
        .offset:         32
        .size:           8
        .value_kind:     global_buffer
      - .actual_access:  read_only
        .address_space:  global
        .offset:         40
        .size:           8
        .value_kind:     global_buffer
      - .offset:         48
        .size:           4
        .value_kind:     by_value
      - .offset:         52
        .size:           4
        .value_kind:     by_value
      - .offset:         56
        .size:           4
        .value_kind:     by_value
      - .offset:         64
        .size:           4
        .value_kind:     hidden_block_count_x
      - .offset:         68
        .size:           4
        .value_kind:     hidden_block_count_y
      - .offset:         72
        .size:           4
        .value_kind:     hidden_block_count_z
      - .offset:         76
        .size:           2
        .value_kind:     hidden_group_size_x
      - .offset:         78
        .size:           2
        .value_kind:     hidden_group_size_y
      - .offset:         80
        .size:           2
        .value_kind:     hidden_group_size_z
      - .offset:         82
        .size:           2
        .value_kind:     hidden_remainder_x
      - .offset:         84
        .size:           2
        .value_kind:     hidden_remainder_y
      - .offset:         86
        .size:           2
        .value_kind:     hidden_remainder_z
      - .offset:         104
        .size:           8
        .value_kind:     hidden_global_offset_x
      - .offset:         112
        .size:           8
        .value_kind:     hidden_global_offset_y
      - .offset:         120
        .size:           8
        .value_kind:     hidden_global_offset_z
      - .offset:         128
        .size:           2
        .value_kind:     hidden_grid_dims
    .group_segment_fixed_size: 132
    .kernarg_segment_align: 8
    .kernarg_segment_size: 320
    .language:       OpenCL C
    .language_version:
      - 2
      - 0
    .max_flat_workgroup_size: 1024
    .name:           _ZN4vllm42fused_add_rms_norm_static_fp8_quant_kernelIfLi8EN3c1015Float8_e4m3fnuzEEENSt9enable_ifIXooeqT0_Li0Entsr12_typeConvertIT_EE6existsEvE4typeEPT1_PS4_iS9_PKS4_PKffii
    .private_segment_fixed_size: 0
    .sgpr_count:     21
    .sgpr_spill_count: 0
    .symbol:         _ZN4vllm42fused_add_rms_norm_static_fp8_quant_kernelIfLi8EN3c1015Float8_e4m3fnuzEEENSt9enable_ifIXooeqT0_Li0Entsr12_typeConvertIT_EE6existsEvE4typeEPT1_PS4_iS9_PKS4_PKffii.kd
    .uniform_work_group_size: 1
    .uses_dynamic_stack: false
    .vgpr_count:     18
    .vgpr_spill_count: 0
    .wavefront_size: 32
    .workgroup_processor_mode: 1
  - .args:
      - .actual_access:  write_only
        .address_space:  global
        .offset:         0
        .size:           8
        .value_kind:     global_buffer
      - .actual_access:  read_only
        .address_space:  global
        .offset:         8
        .size:           8
        .value_kind:     global_buffer
      - .offset:         16
        .size:           4
        .value_kind:     by_value
      - .address_space:  global
        .offset:         24
        .size:           8
        .value_kind:     global_buffer
      - .actual_access:  read_only
        .address_space:  global
        .offset:         32
        .size:           8
        .value_kind:     global_buffer
      - .actual_access:  read_only
        .address_space:  global
        .offset:         40
        .size:           8
        .value_kind:     global_buffer
      - .offset:         48
        .size:           4
        .value_kind:     by_value
      - .offset:         52
        .size:           4
        .value_kind:     by_value
      - .offset:         56
        .size:           4
        .value_kind:     by_value
      - .offset:         64
        .size:           4
        .value_kind:     hidden_block_count_x
      - .offset:         68
        .size:           4
        .value_kind:     hidden_block_count_y
      - .offset:         72
        .size:           4
        .value_kind:     hidden_block_count_z
      - .offset:         76
        .size:           2
        .value_kind:     hidden_group_size_x
      - .offset:         78
        .size:           2
        .value_kind:     hidden_group_size_y
      - .offset:         80
        .size:           2
        .value_kind:     hidden_group_size_z
      - .offset:         82
        .size:           2
        .value_kind:     hidden_remainder_x
      - .offset:         84
        .size:           2
        .value_kind:     hidden_remainder_y
      - .offset:         86
        .size:           2
        .value_kind:     hidden_remainder_z
      - .offset:         104
        .size:           8
        .value_kind:     hidden_global_offset_x
      - .offset:         112
        .size:           8
        .value_kind:     hidden_global_offset_y
      - .offset:         120
        .size:           8
        .value_kind:     hidden_global_offset_z
      - .offset:         128
        .size:           2
        .value_kind:     hidden_grid_dims
    .group_segment_fixed_size: 132
    .kernarg_segment_align: 8
    .kernarg_segment_size: 320
    .language:       OpenCL C
    .language_version:
      - 2
      - 0
    .max_flat_workgroup_size: 1024
    .name:           _ZN4vllm42fused_add_rms_norm_static_fp8_quant_kernelIN3c104HalfELi8ENS1_13Float8_e4m3fnEEENSt9enable_ifIXaagtT0_Li0Esr12_typeConvertIT_EE6existsEvE4typeEPT1_PS5_iSA_PKS5_PKffii
    .private_segment_fixed_size: 0
    .sgpr_count:     23
    .sgpr_spill_count: 0
    .symbol:         _ZN4vllm42fused_add_rms_norm_static_fp8_quant_kernelIN3c104HalfELi8ENS1_13Float8_e4m3fnEEENSt9enable_ifIXaagtT0_Li0Esr12_typeConvertIT_EE6existsEvE4typeEPT1_PS5_iSA_PKS5_PKffii.kd
    .uniform_work_group_size: 1
    .uses_dynamic_stack: false
    .vgpr_count:     30
    .vgpr_spill_count: 0
    .wavefront_size: 32
    .workgroup_processor_mode: 1
  - .args:
      - .actual_access:  write_only
        .address_space:  global
        .offset:         0
        .size:           8
        .value_kind:     global_buffer
      - .actual_access:  read_only
        .address_space:  global
        .offset:         8
        .size:           8
        .value_kind:     global_buffer
      - .offset:         16
        .size:           4
        .value_kind:     by_value
      - .address_space:  global
        .offset:         24
        .size:           8
        .value_kind:     global_buffer
      - .actual_access:  read_only
        .address_space:  global
        .offset:         32
        .size:           8
        .value_kind:     global_buffer
      - .actual_access:  read_only
        .address_space:  global
        .offset:         40
        .size:           8
        .value_kind:     global_buffer
      - .offset:         48
        .size:           4
        .value_kind:     by_value
      - .offset:         52
        .size:           4
        .value_kind:     by_value
      - .offset:         56
        .size:           4
        .value_kind:     by_value
      - .offset:         64
        .size:           4
        .value_kind:     hidden_block_count_x
      - .offset:         68
        .size:           4
        .value_kind:     hidden_block_count_y
      - .offset:         72
        .size:           4
        .value_kind:     hidden_block_count_z
      - .offset:         76
        .size:           2
        .value_kind:     hidden_group_size_x
      - .offset:         78
        .size:           2
        .value_kind:     hidden_group_size_y
      - .offset:         80
        .size:           2
        .value_kind:     hidden_group_size_z
      - .offset:         82
        .size:           2
        .value_kind:     hidden_remainder_x
      - .offset:         84
        .size:           2
        .value_kind:     hidden_remainder_y
      - .offset:         86
        .size:           2
        .value_kind:     hidden_remainder_z
      - .offset:         104
        .size:           8
        .value_kind:     hidden_global_offset_x
      - .offset:         112
        .size:           8
        .value_kind:     hidden_global_offset_y
      - .offset:         120
        .size:           8
        .value_kind:     hidden_global_offset_z
      - .offset:         128
        .size:           2
        .value_kind:     hidden_grid_dims
    .group_segment_fixed_size: 132
    .kernarg_segment_align: 8
    .kernarg_segment_size: 320
    .language:       OpenCL C
    .language_version:
      - 2
      - 0
    .max_flat_workgroup_size: 1024
    .name:           _ZN4vllm42fused_add_rms_norm_static_fp8_quant_kernelIN3c104HalfELi8ENS1_15Float8_e4m3fnuzEEENSt9enable_ifIXaagtT0_Li0Esr12_typeConvertIT_EE6existsEvE4typeEPT1_PS5_iSA_PKS5_PKffii
    .private_segment_fixed_size: 0
    .sgpr_count:     23
    .sgpr_spill_count: 0
    .symbol:         _ZN4vllm42fused_add_rms_norm_static_fp8_quant_kernelIN3c104HalfELi8ENS1_15Float8_e4m3fnuzEEENSt9enable_ifIXaagtT0_Li0Esr12_typeConvertIT_EE6existsEvE4typeEPT1_PS5_iSA_PKS5_PKffii.kd
    .uniform_work_group_size: 1
    .uses_dynamic_stack: false
    .vgpr_count:     30
    .vgpr_spill_count: 0
    .wavefront_size: 32
    .workgroup_processor_mode: 1
  - .args:
      - .actual_access:  write_only
        .address_space:  global
        .offset:         0
        .size:           8
        .value_kind:     global_buffer
      - .actual_access:  read_only
        .address_space:  global
        .offset:         8
        .size:           8
        .value_kind:     global_buffer
      - .offset:         16
        .size:           4
        .value_kind:     by_value
      - .address_space:  global
        .offset:         24
        .size:           8
        .value_kind:     global_buffer
      - .actual_access:  read_only
        .address_space:  global
        .offset:         32
        .size:           8
        .value_kind:     global_buffer
      - .actual_access:  read_only
        .address_space:  global
        .offset:         40
        .size:           8
        .value_kind:     global_buffer
      - .offset:         48
        .size:           4
        .value_kind:     by_value
      - .offset:         52
        .size:           4
        .value_kind:     by_value
      - .offset:         56
        .size:           4
        .value_kind:     by_value
      - .offset:         64
        .size:           4
        .value_kind:     hidden_block_count_x
      - .offset:         68
        .size:           4
        .value_kind:     hidden_block_count_y
      - .offset:         72
        .size:           4
        .value_kind:     hidden_block_count_z
      - .offset:         76
        .size:           2
        .value_kind:     hidden_group_size_x
      - .offset:         78
        .size:           2
        .value_kind:     hidden_group_size_y
      - .offset:         80
        .size:           2
        .value_kind:     hidden_group_size_z
      - .offset:         82
        .size:           2
        .value_kind:     hidden_remainder_x
      - .offset:         84
        .size:           2
        .value_kind:     hidden_remainder_y
      - .offset:         86
        .size:           2
        .value_kind:     hidden_remainder_z
      - .offset:         104
        .size:           8
        .value_kind:     hidden_global_offset_x
      - .offset:         112
        .size:           8
        .value_kind:     hidden_global_offset_y
      - .offset:         120
        .size:           8
        .value_kind:     hidden_global_offset_z
      - .offset:         128
        .size:           2
        .value_kind:     hidden_grid_dims
    .group_segment_fixed_size: 132
    .kernarg_segment_align: 8
    .kernarg_segment_size: 320
    .language:       OpenCL C
    .language_version:
      - 2
      - 0
    .max_flat_workgroup_size: 1024
    .name:           _ZN4vllm42fused_add_rms_norm_static_fp8_quant_kernelIN3c108BFloat16ELi8ENS1_13Float8_e4m3fnEEENSt9enable_ifIXooeqT0_Li0Entsr12_typeConvertIT_EE6existsEvE4typeEPT1_PS5_iSA_PKS5_PKffii
    .private_segment_fixed_size: 0
    .sgpr_count:     21
    .sgpr_spill_count: 0
    .symbol:         _ZN4vllm42fused_add_rms_norm_static_fp8_quant_kernelIN3c108BFloat16ELi8ENS1_13Float8_e4m3fnEEENSt9enable_ifIXooeqT0_Li0Entsr12_typeConvertIT_EE6existsEvE4typeEPT1_PS5_iSA_PKS5_PKffii.kd
    .uniform_work_group_size: 1
    .uses_dynamic_stack: false
    .vgpr_count:     18
    .vgpr_spill_count: 0
    .wavefront_size: 32
    .workgroup_processor_mode: 1
  - .args:
      - .actual_access:  write_only
        .address_space:  global
        .offset:         0
        .size:           8
        .value_kind:     global_buffer
      - .actual_access:  read_only
        .address_space:  global
        .offset:         8
        .size:           8
        .value_kind:     global_buffer
      - .offset:         16
        .size:           4
        .value_kind:     by_value
      - .address_space:  global
        .offset:         24
        .size:           8
        .value_kind:     global_buffer
      - .actual_access:  read_only
        .address_space:  global
        .offset:         32
        .size:           8
        .value_kind:     global_buffer
      - .actual_access:  read_only
        .address_space:  global
        .offset:         40
        .size:           8
        .value_kind:     global_buffer
      - .offset:         48
        .size:           4
        .value_kind:     by_value
      - .offset:         52
        .size:           4
        .value_kind:     by_value
      - .offset:         56
        .size:           4
        .value_kind:     by_value
      - .offset:         64
        .size:           4
        .value_kind:     hidden_block_count_x
      - .offset:         68
        .size:           4
        .value_kind:     hidden_block_count_y
      - .offset:         72
        .size:           4
        .value_kind:     hidden_block_count_z
      - .offset:         76
        .size:           2
        .value_kind:     hidden_group_size_x
      - .offset:         78
        .size:           2
        .value_kind:     hidden_group_size_y
      - .offset:         80
        .size:           2
        .value_kind:     hidden_group_size_z
      - .offset:         82
        .size:           2
        .value_kind:     hidden_remainder_x
      - .offset:         84
        .size:           2
        .value_kind:     hidden_remainder_y
      - .offset:         86
        .size:           2
        .value_kind:     hidden_remainder_z
      - .offset:         104
        .size:           8
        .value_kind:     hidden_global_offset_x
      - .offset:         112
        .size:           8
        .value_kind:     hidden_global_offset_y
      - .offset:         120
        .size:           8
        .value_kind:     hidden_global_offset_z
      - .offset:         128
        .size:           2
        .value_kind:     hidden_grid_dims
    .group_segment_fixed_size: 132
    .kernarg_segment_align: 8
    .kernarg_segment_size: 320
    .language:       OpenCL C
    .language_version:
      - 2
      - 0
    .max_flat_workgroup_size: 1024
    .name:           _ZN4vllm42fused_add_rms_norm_static_fp8_quant_kernelIN3c108BFloat16ELi8ENS1_15Float8_e4m3fnuzEEENSt9enable_ifIXooeqT0_Li0Entsr12_typeConvertIT_EE6existsEvE4typeEPT1_PS5_iSA_PKS5_PKffii
    .private_segment_fixed_size: 0
    .sgpr_count:     21
    .sgpr_spill_count: 0
    .symbol:         _ZN4vllm42fused_add_rms_norm_static_fp8_quant_kernelIN3c108BFloat16ELi8ENS1_15Float8_e4m3fnuzEEENSt9enable_ifIXooeqT0_Li0Entsr12_typeConvertIT_EE6existsEvE4typeEPT1_PS5_iSA_PKS5_PKffii.kd
    .uniform_work_group_size: 1
    .uses_dynamic_stack: false
    .vgpr_count:     18
    .vgpr_spill_count: 0
    .wavefront_size: 32
    .workgroup_processor_mode: 1
  - .args:
      - .actual_access:  write_only
        .address_space:  global
        .offset:         0
        .size:           8
        .value_kind:     global_buffer
      - .actual_access:  read_only
        .address_space:  global
        .offset:         8
        .size:           8
        .value_kind:     global_buffer
      - .offset:         16
        .size:           4
        .value_kind:     by_value
      - .address_space:  global
        .offset:         24
        .size:           8
        .value_kind:     global_buffer
      - .actual_access:  read_only
        .address_space:  global
        .offset:         32
        .size:           8
        .value_kind:     global_buffer
      - .actual_access:  read_only
        .address_space:  global
        .offset:         40
        .size:           8
        .value_kind:     global_buffer
      - .offset:         48
        .size:           4
        .value_kind:     by_value
      - .offset:         52
        .size:           4
        .value_kind:     by_value
      - .offset:         56
        .size:           4
        .value_kind:     by_value
      - .offset:         64
        .size:           4
        .value_kind:     hidden_block_count_x
      - .offset:         68
        .size:           4
        .value_kind:     hidden_block_count_y
      - .offset:         72
        .size:           4
        .value_kind:     hidden_block_count_z
      - .offset:         76
        .size:           2
        .value_kind:     hidden_group_size_x
      - .offset:         78
        .size:           2
        .value_kind:     hidden_group_size_y
      - .offset:         80
        .size:           2
        .value_kind:     hidden_group_size_z
      - .offset:         82
        .size:           2
        .value_kind:     hidden_remainder_x
      - .offset:         84
        .size:           2
        .value_kind:     hidden_remainder_y
      - .offset:         86
        .size:           2
        .value_kind:     hidden_remainder_z
      - .offset:         104
        .size:           8
        .value_kind:     hidden_global_offset_x
      - .offset:         112
        .size:           8
        .value_kind:     hidden_global_offset_y
      - .offset:         120
        .size:           8
        .value_kind:     hidden_global_offset_z
      - .offset:         128
        .size:           2
        .value_kind:     hidden_grid_dims
    .group_segment_fixed_size: 132
    .kernarg_segment_align: 8
    .kernarg_segment_size: 320
    .language:       OpenCL C
    .language_version:
      - 2
      - 0
    .max_flat_workgroup_size: 1024
    .name:           _ZN4vllm42fused_add_rms_norm_static_fp8_quant_kernelIfLi0EN3c1013Float8_e4m3fnEEENSt9enable_ifIXooeqT0_Li0Entsr12_typeConvertIT_EE6existsEvE4typeEPT1_PS4_iS9_PKS4_PKffii
    .private_segment_fixed_size: 0
    .sgpr_count:     21
    .sgpr_spill_count: 0
    .symbol:         _ZN4vllm42fused_add_rms_norm_static_fp8_quant_kernelIfLi0EN3c1013Float8_e4m3fnEEENSt9enable_ifIXooeqT0_Li0Entsr12_typeConvertIT_EE6existsEvE4typeEPT1_PS4_iS9_PKS4_PKffii.kd
    .uniform_work_group_size: 1
    .uses_dynamic_stack: false
    .vgpr_count:     18
    .vgpr_spill_count: 0
    .wavefront_size: 32
    .workgroup_processor_mode: 1
  - .args:
      - .actual_access:  write_only
        .address_space:  global
        .offset:         0
        .size:           8
        .value_kind:     global_buffer
      - .actual_access:  read_only
        .address_space:  global
        .offset:         8
        .size:           8
        .value_kind:     global_buffer
      - .offset:         16
        .size:           4
        .value_kind:     by_value
      - .address_space:  global
        .offset:         24
        .size:           8
        .value_kind:     global_buffer
      - .actual_access:  read_only
        .address_space:  global
        .offset:         32
        .size:           8
        .value_kind:     global_buffer
      - .actual_access:  read_only
        .address_space:  global
        .offset:         40
        .size:           8
        .value_kind:     global_buffer
      - .offset:         48
        .size:           4
        .value_kind:     by_value
      - .offset:         52
        .size:           4
        .value_kind:     by_value
      - .offset:         56
        .size:           4
        .value_kind:     by_value
      - .offset:         64
        .size:           4
        .value_kind:     hidden_block_count_x
      - .offset:         68
        .size:           4
        .value_kind:     hidden_block_count_y
      - .offset:         72
        .size:           4
        .value_kind:     hidden_block_count_z
      - .offset:         76
        .size:           2
        .value_kind:     hidden_group_size_x
      - .offset:         78
        .size:           2
        .value_kind:     hidden_group_size_y
      - .offset:         80
        .size:           2
        .value_kind:     hidden_group_size_z
      - .offset:         82
        .size:           2
        .value_kind:     hidden_remainder_x
      - .offset:         84
        .size:           2
        .value_kind:     hidden_remainder_y
      - .offset:         86
        .size:           2
        .value_kind:     hidden_remainder_z
      - .offset:         104
        .size:           8
        .value_kind:     hidden_global_offset_x
      - .offset:         112
        .size:           8
        .value_kind:     hidden_global_offset_y
      - .offset:         120
        .size:           8
        .value_kind:     hidden_global_offset_z
      - .offset:         128
        .size:           2
        .value_kind:     hidden_grid_dims
    .group_segment_fixed_size: 132
    .kernarg_segment_align: 8
    .kernarg_segment_size: 320
    .language:       OpenCL C
    .language_version:
      - 2
      - 0
    .max_flat_workgroup_size: 1024
    .name:           _ZN4vllm42fused_add_rms_norm_static_fp8_quant_kernelIfLi0EN3c1015Float8_e4m3fnuzEEENSt9enable_ifIXooeqT0_Li0Entsr12_typeConvertIT_EE6existsEvE4typeEPT1_PS4_iS9_PKS4_PKffii
    .private_segment_fixed_size: 0
    .sgpr_count:     21
    .sgpr_spill_count: 0
    .symbol:         _ZN4vllm42fused_add_rms_norm_static_fp8_quant_kernelIfLi0EN3c1015Float8_e4m3fnuzEEENSt9enable_ifIXooeqT0_Li0Entsr12_typeConvertIT_EE6existsEvE4typeEPT1_PS4_iS9_PKS4_PKffii.kd
    .uniform_work_group_size: 1
    .uses_dynamic_stack: false
    .vgpr_count:     18
    .vgpr_spill_count: 0
    .wavefront_size: 32
    .workgroup_processor_mode: 1
  - .args:
      - .actual_access:  write_only
        .address_space:  global
        .offset:         0
        .size:           8
        .value_kind:     global_buffer
      - .actual_access:  read_only
        .address_space:  global
        .offset:         8
        .size:           8
        .value_kind:     global_buffer
      - .offset:         16
        .size:           4
        .value_kind:     by_value
      - .address_space:  global
        .offset:         24
        .size:           8
        .value_kind:     global_buffer
      - .actual_access:  read_only
        .address_space:  global
        .offset:         32
        .size:           8
        .value_kind:     global_buffer
      - .actual_access:  read_only
        .address_space:  global
        .offset:         40
        .size:           8
        .value_kind:     global_buffer
      - .offset:         48
        .size:           4
        .value_kind:     by_value
      - .offset:         52
        .size:           4
        .value_kind:     by_value
      - .offset:         56
        .size:           4
        .value_kind:     by_value
      - .offset:         64
        .size:           4
        .value_kind:     hidden_block_count_x
      - .offset:         68
        .size:           4
        .value_kind:     hidden_block_count_y
      - .offset:         72
        .size:           4
        .value_kind:     hidden_block_count_z
      - .offset:         76
        .size:           2
        .value_kind:     hidden_group_size_x
      - .offset:         78
        .size:           2
        .value_kind:     hidden_group_size_y
      - .offset:         80
        .size:           2
        .value_kind:     hidden_group_size_z
      - .offset:         82
        .size:           2
        .value_kind:     hidden_remainder_x
      - .offset:         84
        .size:           2
        .value_kind:     hidden_remainder_y
      - .offset:         86
        .size:           2
        .value_kind:     hidden_remainder_z
      - .offset:         104
        .size:           8
        .value_kind:     hidden_global_offset_x
      - .offset:         112
        .size:           8
        .value_kind:     hidden_global_offset_y
      - .offset:         120
        .size:           8
        .value_kind:     hidden_global_offset_z
      - .offset:         128
        .size:           2
        .value_kind:     hidden_grid_dims
    .group_segment_fixed_size: 132
    .kernarg_segment_align: 8
    .kernarg_segment_size: 320
    .language:       OpenCL C
    .language_version:
      - 2
      - 0
    .max_flat_workgroup_size: 1024
    .name:           _ZN4vllm42fused_add_rms_norm_static_fp8_quant_kernelIN3c104HalfELi0ENS1_13Float8_e4m3fnEEENSt9enable_ifIXooeqT0_Li0Entsr12_typeConvertIT_EE6existsEvE4typeEPT1_PS5_iSA_PKS5_PKffii
    .private_segment_fixed_size: 0
    .sgpr_count:     21
    .sgpr_spill_count: 0
    .symbol:         _ZN4vllm42fused_add_rms_norm_static_fp8_quant_kernelIN3c104HalfELi0ENS1_13Float8_e4m3fnEEENSt9enable_ifIXooeqT0_Li0Entsr12_typeConvertIT_EE6existsEvE4typeEPT1_PS5_iSA_PKS5_PKffii.kd
    .uniform_work_group_size: 1
    .uses_dynamic_stack: false
    .vgpr_count:     18
    .vgpr_spill_count: 0
    .wavefront_size: 32
    .workgroup_processor_mode: 1
  - .args:
      - .actual_access:  write_only
        .address_space:  global
        .offset:         0
        .size:           8
        .value_kind:     global_buffer
      - .actual_access:  read_only
        .address_space:  global
        .offset:         8
        .size:           8
        .value_kind:     global_buffer
      - .offset:         16
        .size:           4
        .value_kind:     by_value
      - .address_space:  global
        .offset:         24
        .size:           8
        .value_kind:     global_buffer
      - .actual_access:  read_only
        .address_space:  global
        .offset:         32
        .size:           8
        .value_kind:     global_buffer
      - .actual_access:  read_only
        .address_space:  global
        .offset:         40
        .size:           8
        .value_kind:     global_buffer
      - .offset:         48
        .size:           4
        .value_kind:     by_value
      - .offset:         52
        .size:           4
        .value_kind:     by_value
      - .offset:         56
        .size:           4
        .value_kind:     by_value
      - .offset:         64
        .size:           4
        .value_kind:     hidden_block_count_x
      - .offset:         68
        .size:           4
        .value_kind:     hidden_block_count_y
      - .offset:         72
        .size:           4
        .value_kind:     hidden_block_count_z
      - .offset:         76
        .size:           2
        .value_kind:     hidden_group_size_x
      - .offset:         78
        .size:           2
        .value_kind:     hidden_group_size_y
      - .offset:         80
        .size:           2
        .value_kind:     hidden_group_size_z
      - .offset:         82
        .size:           2
        .value_kind:     hidden_remainder_x
      - .offset:         84
        .size:           2
        .value_kind:     hidden_remainder_y
      - .offset:         86
        .size:           2
        .value_kind:     hidden_remainder_z
      - .offset:         104
        .size:           8
        .value_kind:     hidden_global_offset_x
      - .offset:         112
        .size:           8
        .value_kind:     hidden_global_offset_y
      - .offset:         120
        .size:           8
        .value_kind:     hidden_global_offset_z
      - .offset:         128
        .size:           2
        .value_kind:     hidden_grid_dims
    .group_segment_fixed_size: 132
    .kernarg_segment_align: 8
    .kernarg_segment_size: 320
    .language:       OpenCL C
    .language_version:
      - 2
      - 0
    .max_flat_workgroup_size: 1024
    .name:           _ZN4vllm42fused_add_rms_norm_static_fp8_quant_kernelIN3c104HalfELi0ENS1_15Float8_e4m3fnuzEEENSt9enable_ifIXooeqT0_Li0Entsr12_typeConvertIT_EE6existsEvE4typeEPT1_PS5_iSA_PKS5_PKffii
    .private_segment_fixed_size: 0
    .sgpr_count:     21
    .sgpr_spill_count: 0
    .symbol:         _ZN4vllm42fused_add_rms_norm_static_fp8_quant_kernelIN3c104HalfELi0ENS1_15Float8_e4m3fnuzEEENSt9enable_ifIXooeqT0_Li0Entsr12_typeConvertIT_EE6existsEvE4typeEPT1_PS5_iSA_PKS5_PKffii.kd
    .uniform_work_group_size: 1
    .uses_dynamic_stack: false
    .vgpr_count:     18
    .vgpr_spill_count: 0
    .wavefront_size: 32
    .workgroup_processor_mode: 1
  - .args:
      - .actual_access:  write_only
        .address_space:  global
        .offset:         0
        .size:           8
        .value_kind:     global_buffer
      - .actual_access:  read_only
        .address_space:  global
        .offset:         8
        .size:           8
        .value_kind:     global_buffer
      - .offset:         16
        .size:           4
        .value_kind:     by_value
      - .address_space:  global
        .offset:         24
        .size:           8
        .value_kind:     global_buffer
      - .actual_access:  read_only
        .address_space:  global
        .offset:         32
        .size:           8
        .value_kind:     global_buffer
      - .actual_access:  read_only
        .address_space:  global
        .offset:         40
        .size:           8
        .value_kind:     global_buffer
      - .offset:         48
        .size:           4
        .value_kind:     by_value
      - .offset:         52
        .size:           4
        .value_kind:     by_value
      - .offset:         56
        .size:           4
        .value_kind:     by_value
      - .offset:         64
        .size:           4
        .value_kind:     hidden_block_count_x
      - .offset:         68
        .size:           4
        .value_kind:     hidden_block_count_y
      - .offset:         72
        .size:           4
        .value_kind:     hidden_block_count_z
      - .offset:         76
        .size:           2
        .value_kind:     hidden_group_size_x
      - .offset:         78
        .size:           2
        .value_kind:     hidden_group_size_y
      - .offset:         80
        .size:           2
        .value_kind:     hidden_group_size_z
      - .offset:         82
        .size:           2
        .value_kind:     hidden_remainder_x
      - .offset:         84
        .size:           2
        .value_kind:     hidden_remainder_y
      - .offset:         86
        .size:           2
        .value_kind:     hidden_remainder_z
      - .offset:         104
        .size:           8
        .value_kind:     hidden_global_offset_x
      - .offset:         112
        .size:           8
        .value_kind:     hidden_global_offset_y
      - .offset:         120
        .size:           8
        .value_kind:     hidden_global_offset_z
      - .offset:         128
        .size:           2
        .value_kind:     hidden_grid_dims
    .group_segment_fixed_size: 132
    .kernarg_segment_align: 8
    .kernarg_segment_size: 320
    .language:       OpenCL C
    .language_version:
      - 2
      - 0
    .max_flat_workgroup_size: 1024
    .name:           _ZN4vllm42fused_add_rms_norm_static_fp8_quant_kernelIN3c108BFloat16ELi0ENS1_13Float8_e4m3fnEEENSt9enable_ifIXooeqT0_Li0Entsr12_typeConvertIT_EE6existsEvE4typeEPT1_PS5_iSA_PKS5_PKffii
    .private_segment_fixed_size: 0
    .sgpr_count:     21
    .sgpr_spill_count: 0
    .symbol:         _ZN4vllm42fused_add_rms_norm_static_fp8_quant_kernelIN3c108BFloat16ELi0ENS1_13Float8_e4m3fnEEENSt9enable_ifIXooeqT0_Li0Entsr12_typeConvertIT_EE6existsEvE4typeEPT1_PS5_iSA_PKS5_PKffii.kd
    .uniform_work_group_size: 1
    .uses_dynamic_stack: false
    .vgpr_count:     18
    .vgpr_spill_count: 0
    .wavefront_size: 32
    .workgroup_processor_mode: 1
  - .args:
      - .actual_access:  write_only
        .address_space:  global
        .offset:         0
        .size:           8
        .value_kind:     global_buffer
      - .actual_access:  read_only
        .address_space:  global
        .offset:         8
        .size:           8
        .value_kind:     global_buffer
      - .offset:         16
        .size:           4
        .value_kind:     by_value
      - .address_space:  global
        .offset:         24
        .size:           8
        .value_kind:     global_buffer
      - .actual_access:  read_only
        .address_space:  global
        .offset:         32
        .size:           8
        .value_kind:     global_buffer
      - .actual_access:  read_only
        .address_space:  global
        .offset:         40
        .size:           8
        .value_kind:     global_buffer
      - .offset:         48
        .size:           4
        .value_kind:     by_value
      - .offset:         52
        .size:           4
        .value_kind:     by_value
      - .offset:         56
        .size:           4
        .value_kind:     by_value
      - .offset:         64
        .size:           4
        .value_kind:     hidden_block_count_x
      - .offset:         68
        .size:           4
        .value_kind:     hidden_block_count_y
      - .offset:         72
        .size:           4
        .value_kind:     hidden_block_count_z
      - .offset:         76
        .size:           2
        .value_kind:     hidden_group_size_x
      - .offset:         78
        .size:           2
        .value_kind:     hidden_group_size_y
      - .offset:         80
        .size:           2
        .value_kind:     hidden_group_size_z
      - .offset:         82
        .size:           2
        .value_kind:     hidden_remainder_x
      - .offset:         84
        .size:           2
        .value_kind:     hidden_remainder_y
      - .offset:         86
        .size:           2
        .value_kind:     hidden_remainder_z
      - .offset:         104
        .size:           8
        .value_kind:     hidden_global_offset_x
      - .offset:         112
        .size:           8
        .value_kind:     hidden_global_offset_y
      - .offset:         120
        .size:           8
        .value_kind:     hidden_global_offset_z
      - .offset:         128
        .size:           2
        .value_kind:     hidden_grid_dims
    .group_segment_fixed_size: 132
    .kernarg_segment_align: 8
    .kernarg_segment_size: 320
    .language:       OpenCL C
    .language_version:
      - 2
      - 0
    .max_flat_workgroup_size: 1024
    .name:           _ZN4vllm42fused_add_rms_norm_static_fp8_quant_kernelIN3c108BFloat16ELi0ENS1_15Float8_e4m3fnuzEEENSt9enable_ifIXooeqT0_Li0Entsr12_typeConvertIT_EE6existsEvE4typeEPT1_PS5_iSA_PKS5_PKffii
    .private_segment_fixed_size: 0
    .sgpr_count:     21
    .sgpr_spill_count: 0
    .symbol:         _ZN4vllm42fused_add_rms_norm_static_fp8_quant_kernelIN3c108BFloat16ELi0ENS1_15Float8_e4m3fnuzEEENSt9enable_ifIXooeqT0_Li0Entsr12_typeConvertIT_EE6existsEvE4typeEPT1_PS5_iSA_PKS5_PKffii.kd
    .uniform_work_group_size: 1
    .uses_dynamic_stack: false
    .vgpr_count:     18
    .vgpr_spill_count: 0
    .wavefront_size: 32
    .workgroup_processor_mode: 1
amdhsa.target:   amdgcn-amd-amdhsa--gfx1100
amdhsa.version:
  - 1
  - 2
...

	.end_amdgpu_metadata
